;; amdgpu-corpus repo=ROCm/rocFFT kind=compiled arch=gfx906 opt=O3
	.text
	.amdgcn_target "amdgcn-amd-amdhsa--gfx906"
	.amdhsa_code_object_version 6
	.protected	bluestein_single_fwd_len1071_dim1_dp_op_CI_CI ; -- Begin function bluestein_single_fwd_len1071_dim1_dp_op_CI_CI
	.globl	bluestein_single_fwd_len1071_dim1_dp_op_CI_CI
	.p2align	8
	.type	bluestein_single_fwd_len1071_dim1_dp_op_CI_CI,@function
bluestein_single_fwd_len1071_dim1_dp_op_CI_CI: ; @bluestein_single_fwd_len1071_dim1_dp_op_CI_CI
; %bb.0:
	s_mov_b64 s[66:67], s[2:3]
	s_mov_b64 s[64:65], s[0:1]
	v_mul_u32_u24_e32 v1, 0x227, v0
	s_add_u32 s64, s64, s7
	v_add_u32_sdwa v3, s6, v1 dst_sel:DWORD dst_unused:UNUSED_PAD src0_sel:DWORD src1_sel:WORD_1
	s_addc_u32 s65, s65, 0
	v_mov_b32_e32 v2, v3
	buffer_store_dword v2, off, s[64:67], 0 ; 4-byte Folded Spill
	s_nop 0
	buffer_store_dword v3, off, s[64:67], 0 offset:4 ; 4-byte Folded Spill
	s_load_dwordx4 s[0:3], s[4:5], 0x28
	v_mov_b32_e32 v4, 0
	s_waitcnt lgkmcnt(0)
	v_cmp_gt_u64_e32 vcc, s[0:1], v[3:4]
	s_and_saveexec_b64 s[0:1], vcc
	s_cbranch_execz .LBB0_23
; %bb.1:
	s_load_dwordx2 s[12:13], s[4:5], 0x0
	s_load_dwordx2 s[14:15], s[4:5], 0x38
	s_movk_i32 s0, 0x77
	v_mul_lo_u16_sdwa v1, v1, s0 dst_sel:DWORD dst_unused:UNUSED_PAD src0_sel:WORD_1 src1_sel:DWORD
	v_sub_u16_e32 v148, v0, v1
	v_cmp_gt_u16_e64 s[0:1], 63, v148
	v_lshlrev_b32_e32 v255, 4, v148
	s_and_saveexec_b64 s[6:7], s[0:1]
	s_cbranch_execz .LBB0_3
; %bb.2:
	s_load_dwordx2 s[8:9], s[4:5], 0x18
	s_waitcnt lgkmcnt(0)
	s_load_dwordx4 s[8:11], s[8:9], 0x0
	buffer_load_dword v0, off, s[64:67], 0  ; 4-byte Folded Reload
	buffer_load_dword v1, off, s[64:67], 0 offset:4 ; 4-byte Folded Reload
	s_waitcnt lgkmcnt(0)
	v_mad_u64_u32 v[2:3], s[16:17], s8, v148, 0
	s_waitcnt vmcnt(1)
	v_mov_b32_e32 v4, v0
	s_waitcnt vmcnt(0)
	v_mad_u64_u32 v[0:1], s[16:17], s10, v4, 0
	v_mad_u64_u32 v[4:5], s[10:11], s11, v4, v[1:2]
	;; [unrolled: 1-line block ×3, first 2 shown]
	v_mov_b32_e32 v1, v4
	v_lshlrev_b64 v[0:1], 4, v[0:1]
	v_mov_b32_e32 v3, v5
	v_mov_b32_e32 v6, s3
	v_lshlrev_b64 v[2:3], 4, v[2:3]
	v_add_co_u32_e32 v0, vcc, s2, v0
	v_addc_co_u32_e32 v1, vcc, v6, v1, vcc
	v_add_co_u32_e32 v16, vcc, v0, v2
	v_addc_co_u32_e32 v17, vcc, v1, v3, vcc
	v_mov_b32_e32 v0, s13
	v_add_co_u32_e32 v110, vcc, s12, v255
	s_mul_i32 s2, s9, 0x3f0
	s_mul_hi_u32 s3, s8, 0x3f0
	v_addc_co_u32_e32 v111, vcc, 0, v0, vcc
	s_add_i32 s2, s3, s2
	s_mul_i32 s3, s8, 0x3f0
	v_mov_b32_e32 v0, s2
	v_add_co_u32_e32 v18, vcc, s3, v16
	v_addc_co_u32_e32 v19, vcc, v17, v0, vcc
	global_load_dwordx4 v[0:3], v[16:17], off
	global_load_dwordx4 v[4:7], v[18:19], off
	global_load_dwordx4 v[8:11], v255, s[12:13]
	global_load_dwordx4 v[12:15], v255, s[12:13] offset:1008
	v_mov_b32_e32 v16, s2
	v_add_co_u32_e32 v32, vcc, s3, v18
	v_addc_co_u32_e32 v33, vcc, v19, v16, vcc
	v_add_co_u32_e32 v34, vcc, s3, v32
	v_addc_co_u32_e32 v35, vcc, v33, v16, vcc
	global_load_dwordx4 v[16:19], v[32:33], off
	global_load_dwordx4 v[20:23], v[34:35], off
	global_load_dwordx4 v[24:27], v255, s[12:13] offset:2016
	global_load_dwordx4 v[28:31], v255, s[12:13] offset:3024
	v_mov_b32_e32 v32, s2
	v_add_co_u32_e32 v40, vcc, s3, v34
	v_addc_co_u32_e32 v41, vcc, v35, v32, vcc
	v_mov_b32_e32 v42, s2
	v_add_co_u32_e32 v52, vcc, s3, v40
	v_addc_co_u32_e32 v53, vcc, v41, v42, vcc
	s_movk_i32 s8, 0x1000
	v_add_co_u32_e32 v72, vcc, s8, v110
	v_addc_co_u32_e32 v73, vcc, 0, v111, vcc
	v_mov_b32_e32 v54, s2
	v_add_co_u32_e32 v56, vcc, s3, v52
	v_addc_co_u32_e32 v57, vcc, v53, v54, vcc
	global_load_dwordx4 v[32:35], v[40:41], off
	global_load_dwordx4 v[36:39], v255, s[12:13] offset:4032
	v_mov_b32_e32 v58, s2
	v_add_co_u32_e32 v60, vcc, s3, v56
	v_addc_co_u32_e32 v61, vcc, v57, v58, vcc
	v_mov_b32_e32 v62, s2
	v_add_co_u32_e32 v74, vcc, s3, v60
	v_addc_co_u32_e32 v75, vcc, v61, v62, vcc
	global_load_dwordx4 v[40:43], v[52:53], off
	global_load_dwordx4 v[44:47], v[72:73], off offset:944
	global_load_dwordx4 v[48:51], v[72:73], off offset:1952
	v_add_co_u32_e32 v76, vcc, s3, v74
	global_load_dwordx4 v[52:55], v[56:57], off
	s_movk_i32 s8, 0x2000
	global_load_dwordx4 v[56:59], v[60:61], off
	s_nop 0
	global_load_dwordx4 v[60:63], v[74:75], off
	global_load_dwordx4 v[64:67], v[72:73], off offset:2960
	global_load_dwordx4 v[68:71], v[72:73], off offset:3968
	v_mov_b32_e32 v72, s2
	v_addc_co_u32_e32 v77, vcc, v75, v72, vcc
	v_add_co_u32_e32 v104, vcc, s8, v110
	v_addc_co_u32_e32 v105, vcc, 0, v111, vcc
	v_mov_b32_e32 v78, s2
	v_add_co_u32_e32 v88, vcc, s3, v76
	v_addc_co_u32_e32 v89, vcc, v77, v78, vcc
	v_mov_b32_e32 v90, s2
	;; [unrolled: 3-line block ×3, first 2 shown]
	v_add_co_u32_e32 v106, vcc, s3, v92
	v_addc_co_u32_e32 v107, vcc, v93, v94, vcc
	global_load_dwordx4 v[72:75], v[76:77], off
	s_nop 0
	global_load_dwordx4 v[76:79], v[88:89], off
	global_load_dwordx4 v[80:83], v[104:105], off offset:880
	global_load_dwordx4 v[84:87], v[104:105], off offset:1888
	v_add_co_u32_e32 v108, vcc, s3, v106
	global_load_dwordx4 v[88:91], v[92:93], off
	s_nop 0
	global_load_dwordx4 v[92:95], v[106:107], off
	global_load_dwordx4 v[96:99], v[104:105], off offset:2896
	global_load_dwordx4 v[100:103], v[104:105], off offset:3904
	v_mov_b32_e32 v104, s2
	v_addc_co_u32_e32 v109, vcc, v107, v104, vcc
	s_movk_i32 s8, 0x3000
	v_add_co_u32_e32 v132, vcc, s8, v110
	v_addc_co_u32_e32 v133, vcc, 0, v111, vcc
	v_mov_b32_e32 v110, s2
	v_add_co_u32_e32 v120, vcc, s3, v108
	v_addc_co_u32_e32 v121, vcc, v109, v110, vcc
	v_mov_b32_e32 v122, s2
	v_add_co_u32_e32 v124, vcc, s3, v120
	global_load_dwordx4 v[104:107], v[108:109], off
	v_addc_co_u32_e32 v125, vcc, v121, v122, vcc
	global_load_dwordx4 v[108:111], v[120:121], off
	global_load_dwordx4 v[112:115], v[132:133], off offset:816
	global_load_dwordx4 v[116:119], v[132:133], off offset:1824
	v_mov_b32_e32 v126, s2
	v_add_co_u32_e32 v128, vcc, s3, v124
	global_load_dwordx4 v[120:123], v[124:125], off
	v_addc_co_u32_e32 v129, vcc, v125, v126, vcc
	global_load_dwordx4 v[124:127], v[132:133], off offset:2832
	s_nop 0
	global_load_dwordx4 v[128:131], v[128:129], off
	s_nop 0
	global_load_dwordx4 v[132:135], v[132:133], off offset:3840
	s_waitcnt vmcnt(31)
	v_mul_f64 v[136:137], v[2:3], v[10:11]
	v_mul_f64 v[10:11], v[0:1], v[10:11]
	s_waitcnt vmcnt(27)
	v_mul_f64 v[140:141], v[18:19], v[26:27]
	v_mul_f64 v[26:27], v[16:17], v[26:27]
	;; [unrolled: 1-line block ×4, first 2 shown]
	s_waitcnt vmcnt(26)
	v_mul_f64 v[142:143], v[22:23], v[30:31]
	v_mul_f64 v[30:31], v[20:21], v[30:31]
	s_waitcnt vmcnt(24)
	v_mul_f64 v[144:145], v[34:35], v[38:39]
	v_mul_f64 v[38:39], v[32:33], v[38:39]
	v_fma_f64 v[0:1], v[0:1], v[8:9], v[136:137]
	v_fma_f64 v[2:3], v[2:3], v[8:9], -v[10:11]
	v_fma_f64 v[8:9], v[16:17], v[24:25], v[140:141]
	v_fma_f64 v[10:11], v[18:19], v[24:25], -v[26:27]
	;; [unrolled: 2-line block ×3, first 2 shown]
	v_fma_f64 v[12:13], v[20:21], v[28:29], v[142:143]
	s_waitcnt vmcnt(22)
	v_mul_f64 v[146:147], v[42:43], v[46:47]
	v_mul_f64 v[46:47], v[40:41], v[46:47]
	v_fma_f64 v[14:15], v[22:23], v[28:29], -v[30:31]
	v_fma_f64 v[16:17], v[32:33], v[36:37], v[144:145]
	s_waitcnt vmcnt(20)
	v_mul_f64 v[24:25], v[54:55], v[50:51]
	v_mul_f64 v[26:27], v[52:53], v[50:51]
	s_waitcnt vmcnt(17)
	v_mul_f64 v[28:29], v[58:59], v[66:67]
	v_mul_f64 v[30:31], v[56:57], v[66:67]
	v_fma_f64 v[18:19], v[34:35], v[36:37], -v[38:39]
	s_waitcnt vmcnt(16)
	v_mul_f64 v[32:33], v[62:63], v[70:71]
	v_mul_f64 v[34:35], v[60:61], v[70:71]
	v_fma_f64 v[20:21], v[40:41], v[44:45], v[146:147]
	v_fma_f64 v[22:23], v[42:43], v[44:45], -v[46:47]
	v_fma_f64 v[24:25], v[52:53], v[48:49], v[24:25]
	v_fma_f64 v[26:27], v[54:55], v[48:49], -v[26:27]
	ds_write_b128 v255, v[0:3]
	v_fma_f64 v[0:1], v[56:57], v[64:65], v[28:29]
	v_fma_f64 v[2:3], v[58:59], v[64:65], -v[30:31]
	v_fma_f64 v[28:29], v[60:61], v[68:69], v[32:33]
	v_fma_f64 v[30:31], v[62:63], v[68:69], -v[34:35]
	ds_write_b128 v255, v[4:7] offset:1008
	ds_write_b128 v255, v[8:11] offset:2016
	ds_write_b128 v255, v[12:15] offset:3024
	ds_write_b128 v255, v[16:19] offset:4032
	ds_write_b128 v255, v[20:23] offset:5040
	ds_write_b128 v255, v[24:27] offset:6048
	ds_write_b128 v255, v[0:3] offset:7056
	ds_write_b128 v255, v[28:31] offset:8064
	s_waitcnt vmcnt(13)
	v_mul_f64 v[0:1], v[74:75], v[82:83]
	v_mul_f64 v[2:3], v[72:73], v[82:83]
	s_waitcnt vmcnt(12)
	v_mul_f64 v[4:5], v[78:79], v[86:87]
	v_mul_f64 v[6:7], v[76:77], v[86:87]
	;; [unrolled: 3-line block ×4, first 2 shown]
	v_fma_f64 v[0:1], v[72:73], v[80:81], v[0:1]
	v_fma_f64 v[2:3], v[74:75], v[80:81], -v[2:3]
	v_fma_f64 v[4:5], v[76:77], v[84:85], v[4:5]
	v_fma_f64 v[6:7], v[78:79], v[84:85], -v[6:7]
	;; [unrolled: 2-line block ×4, first 2 shown]
	s_waitcnt vmcnt(5)
	v_mul_f64 v[16:17], v[106:107], v[114:115]
	v_mul_f64 v[18:19], v[104:105], v[114:115]
	s_waitcnt vmcnt(4)
	v_mul_f64 v[20:21], v[110:111], v[118:119]
	v_mul_f64 v[22:23], v[108:109], v[118:119]
	;; [unrolled: 3-line block ×4, first 2 shown]
	v_fma_f64 v[16:17], v[104:105], v[112:113], v[16:17]
	v_fma_f64 v[18:19], v[106:107], v[112:113], -v[18:19]
	v_fma_f64 v[20:21], v[108:109], v[116:117], v[20:21]
	v_fma_f64 v[22:23], v[110:111], v[116:117], -v[22:23]
	;; [unrolled: 2-line block ×4, first 2 shown]
	ds_write_b128 v255, v[0:3] offset:9072
	ds_write_b128 v255, v[4:7] offset:10080
	;; [unrolled: 1-line block ×8, first 2 shown]
.LBB0_3:
	s_or_b64 exec, exec, s[6:7]
	buffer_store_dword v148, off, s[64:67], 0 offset:8 ; 4-byte Folded Spill
	s_waitcnt vmcnt(0) lgkmcnt(0)
	s_barrier
	s_waitcnt lgkmcnt(0)
                                        ; implicit-def: $vgpr12_vgpr13
                                        ; implicit-def: $vgpr60_vgpr61
                                        ; implicit-def: $vgpr64_vgpr65
                                        ; implicit-def: $vgpr68_vgpr69
                                        ; implicit-def: $vgpr72_vgpr73
                                        ; implicit-def: $vgpr76_vgpr77
                                        ; implicit-def: $vgpr24_vgpr25
                                        ; implicit-def: $vgpr16_vgpr17
                                        ; implicit-def: $vgpr20_vgpr21
                                        ; implicit-def: $vgpr28_vgpr29
                                        ; implicit-def: $vgpr32_vgpr33
                                        ; implicit-def: $vgpr36_vgpr37
                                        ; implicit-def: $vgpr40_vgpr41
                                        ; implicit-def: $vgpr44_vgpr45
                                        ; implicit-def: $vgpr48_vgpr49
                                        ; implicit-def: $vgpr52_vgpr53
                                        ; implicit-def: $vgpr56_vgpr57
	s_and_saveexec_b64 s[2:3], s[0:1]
	s_cbranch_execz .LBB0_5
; %bb.4:
	ds_read_b128 v[12:15], v255
	ds_read_b128 v[60:63], v255 offset:1008
	ds_read_b128 v[64:67], v255 offset:2016
	;; [unrolled: 1-line block ×16, first 2 shown]
.LBB0_5:
	s_or_b64 exec, exec, s[2:3]
	s_waitcnt lgkmcnt(0)
	v_add_f64 v[2:3], v[62:63], -v[58:59]
	s_mov_b32 s40, 0x5d8e7cdc
	s_mov_b32 s41, 0xbfd71e95
	v_add_f64 v[0:1], v[60:61], -v[56:57]
	v_add_f64 v[110:111], v[66:67], -v[54:55]
	s_mov_b32 s48, 0x2a9d6da3
	s_mov_b32 s38, 0x7c9e640b
	;; [unrolled: 1-line block ×3, first 2 shown]
	v_mul_f64 v[4:5], v[2:3], s[40:41]
	s_mov_b32 s26, 0x923c349f
	s_mov_b32 s28, 0x6c9a05f6
	;; [unrolled: 1-line block ×7, first 2 shown]
	s_load_dwordx2 s[6:7], s[4:5], 0x20
	s_load_dwordx2 s[8:9], s[4:5], 0x8
	v_mul_f64 v[6:7], v[0:1], s[40:41]
	buffer_store_dword v4, off, s[64:67], 0 offset:12 ; 4-byte Folded Spill
	s_nop 0
	buffer_store_dword v5, off, s[64:67], 0 offset:16 ; 4-byte Folded Spill
	v_mul_f64 v[8:9], v[2:3], s[48:49]
	v_mul_f64 v[10:11], v[0:1], s[48:49]
	;; [unrolled: 1-line block ×10, first 2 shown]
	v_add_f64 v[108:109], v[64:65], -v[52:53]
	v_mul_f64 v[112:113], v[110:111], s[48:49]
	buffer_store_dword v6, off, s[64:67], 0 offset:28 ; 4-byte Folded Spill
	s_nop 0
	buffer_store_dword v7, off, s[64:67], 0 offset:32 ; 4-byte Folded Spill
	buffer_store_dword v8, off, s[64:67], 0 offset:44 ; 4-byte Folded Spill
	s_nop 0
	buffer_store_dword v9, off, s[64:67], 0 offset:48 ; 4-byte Folded Spill
	;; [unrolled: 3-line block ×11, first 2 shown]
	v_mul_f64 v[118:119], v[108:109], s[48:49]
	buffer_store_dword v112, off, s[64:67], 0 offset:160 ; 4-byte Folded Spill
	s_nop 0
	buffer_store_dword v113, off, s[64:67], 0 offset:164 ; 4-byte Folded Spill
	buffer_store_dword v118, off, s[64:67], 0 offset:176 ; 4-byte Folded Spill
	s_nop 0
	buffer_store_dword v119, off, s[64:67], 0 offset:180 ; 4-byte Folded Spill
	v_add_f64 v[114:115], v[60:61], v[56:57]
	s_mov_b32 s2, 0x370991
	s_mov_b32 s3, 0x3fedd6d0
	v_add_f64 v[116:117], v[62:63], v[58:59]
	v_add_f64 v[124:125], v[64:65], v[52:53]
	s_mov_b32 s22, 0x75d4884
	s_mov_b32 s23, 0x3fe7a5f6
	v_add_f64 v[126:127], v[66:67], v[54:55]
	s_mov_b32 s10, 0x3259b75e
	s_mov_b32 s11, 0x3fb79ee6
	;; [unrolled: 1-line block ×20, first 2 shown]
	v_mul_f64 v[96:97], v[2:3], s[34:35]
	s_mov_b32 s31, 0x3feca52d
	s_mov_b32 s30, s38
	v_mul_f64 v[100:101], v[0:1], s[34:35]
	v_mul_f64 v[2:3], v[2:3], s[36:37]
	s_mov_b32 s47, 0x3fd71e95
	s_mov_b32 s46, s40
	v_mul_f64 v[0:1], v[0:1], s[36:37]
	v_fma_f64 v[98:99], v[114:115], s[16:17], -v[96:97]
	v_fma_f64 v[96:97], v[114:115], s[16:17], v[96:97]
	v_add_f64 v[152:153], v[68:69], v[48:49]
	v_fma_f64 v[102:103], v[116:117], s[16:17], v[100:101]
	v_fma_f64 v[100:101], v[116:117], s[16:17], -v[100:101]
	v_fma_f64 v[104:105], v[114:115], s[20:21], -v[2:3]
	v_fma_f64 v[2:3], v[114:115], s[20:21], v[2:3]
	v_fma_f64 v[106:107], v[116:117], s[20:21], v[0:1]
	v_add_f64 v[98:99], v[12:13], v[98:99]
	v_add_f64 v[96:97], v[12:13], v[96:97]
	v_fma_f64 v[4:5], v[114:115], s[2:3], v[4:5]
	v_fma_f64 v[0:1], v[116:117], s[20:21], -v[0:1]
	v_add_f64 v[100:101], v[14:15], v[100:101]
	v_add_f64 v[104:105], v[12:13], v[104:105]
	;; [unrolled: 1-line block ×5, first 2 shown]
	s_mov_b32 s45, 0x3fc7851a
	v_add_f64 v[4:5], v[12:13], v[4:5]
	v_add_f64 v[0:1], v[14:15], v[0:1]
	s_mov_b32 s44, s36
	v_add_f64 v[102:103], v[14:15], v[102:103]
	v_add_f64 v[178:179], v[72:73], v[44:45]
	v_fma_f64 v[6:7], v[116:117], s[2:3], -v[6:7]
	v_fma_f64 v[8:9], v[114:115], s[22:23], v[8:9]
	v_fma_f64 v[10:11], v[116:117], s[22:23], -v[10:11]
	v_fma_f64 v[80:81], v[114:115], s[4:5], v[80:81]
	;; [unrolled: 2-line block ×4, first 2 shown]
	v_add_f64 v[6:7], v[14:15], v[6:7]
	v_add_f64 v[8:9], v[12:13], v[8:9]
	;; [unrolled: 1-line block ×4, first 2 shown]
	v_fma_f64 v[112:113], v[124:125], s[22:23], v[112:113]
	v_add_f64 v[82:83], v[14:15], v[82:83]
	v_add_f64 v[84:85], v[12:13], v[84:85]
	v_add_f64 v[86:87], v[14:15], v[86:87]
	v_add_f64 v[88:89], v[12:13], v[88:89]
	v_fma_f64 v[90:91], v[116:117], s[18:19], -v[90:91]
	v_fma_f64 v[92:93], v[114:115], s[24:25], v[92:93]
	v_fma_f64 v[94:95], v[116:117], s[24:25], -v[94:95]
	v_add_f64 v[4:5], v[112:113], v[4:5]
	v_fma_f64 v[112:113], v[126:127], s[22:23], -v[118:119]
	v_mul_f64 v[118:119], v[108:109], s[42:43]
	v_add_f64 v[180:181], v[74:75], v[46:47]
	s_mov_b32 s55, 0x3fe9895b
	v_add_f64 v[90:91], v[14:15], v[90:91]
	v_add_f64 v[92:93], v[12:13], v[92:93]
	;; [unrolled: 1-line block ×3, first 2 shown]
	s_mov_b32 s54, s28
	v_add_f64 v[6:7], v[112:113], v[6:7]
	v_mul_f64 v[112:113], v[110:111], s[42:43]
	buffer_store_dword v112, off, s[64:67], 0 offset:184 ; 4-byte Folded Spill
	s_nop 0
	buffer_store_dword v113, off, s[64:67], 0 offset:188 ; 4-byte Folded Spill
	buffer_store_dword v118, off, s[64:67], 0 offset:232 ; 4-byte Folded Spill
	s_nop 0
	buffer_store_dword v119, off, s[64:67], 0 offset:236 ; 4-byte Folded Spill
	v_add_f64 v[207:208], v[76:77], v[40:41]
	v_add_f64 v[209:210], v[78:79], v[42:43]
	;; [unrolled: 1-line block ×4, first 2 shown]
	v_add_f64 v[156:157], v[18:19], -v[34:35]
	v_add_f64 v[150:151], v[16:17], -v[32:33]
	v_add_f64 v[200:201], v[22:23], -v[30:31]
	v_add_f64 v[194:195], v[20:21], -v[28:29]
	v_mul_f64 v[166:167], v[156:157], s[54:55]
	v_mul_f64 v[140:141], v[150:151], s[30:31]
	;; [unrolled: 1-line block ×14, first 2 shown]
	v_fma_f64 v[112:113], v[124:125], s[10:11], v[112:113]
	v_add_f64 v[8:9], v[112:113], v[8:9]
	v_fma_f64 v[112:113], v[126:127], s[10:11], -v[118:119]
	v_mul_f64 v[118:119], v[108:109], s[28:29]
	v_add_f64 v[10:11], v[112:113], v[10:11]
	v_mul_f64 v[112:113], v[110:111], s[28:29]
	buffer_store_dword v112, off, s[64:67], 0 offset:248 ; 4-byte Folded Spill
	s_nop 0
	buffer_store_dword v113, off, s[64:67], 0 offset:252 ; 4-byte Folded Spill
	buffer_store_dword v118, off, s[64:67], 0 offset:256 ; 4-byte Folded Spill
	s_nop 0
	buffer_store_dword v119, off, s[64:67], 0 offset:260 ; 4-byte Folded Spill
	v_fma_f64 v[112:113], v[124:125], s[24:25], v[112:113]
	v_add_f64 v[80:81], v[112:113], v[80:81]
	v_fma_f64 v[112:113], v[126:127], s[24:25], -v[118:119]
	v_mul_f64 v[118:119], v[108:109], s[36:37]
	v_add_f64 v[82:83], v[112:113], v[82:83]
	v_mul_f64 v[112:113], v[110:111], s[36:37]
	buffer_store_dword v112, off, s[64:67], 0 offset:264 ; 4-byte Folded Spill
	s_nop 0
	buffer_store_dword v113, off, s[64:67], 0 offset:268 ; 4-byte Folded Spill
	buffer_store_dword v118, off, s[64:67], 0 offset:272 ; 4-byte Folded Spill
	s_nop 0
	buffer_store_dword v119, off, s[64:67], 0 offset:276 ; 4-byte Folded Spill
	;; [unrolled: 12-line block ×4, first 2 shown]
	v_fma_f64 v[112:113], v[124:125], s[18:19], v[112:113]
	v_add_f64 v[92:93], v[112:113], v[92:93]
	v_fma_f64 v[112:113], v[126:127], s[18:19], -v[118:119]
	v_add_f64 v[94:95], v[112:113], v[94:95]
	v_mul_f64 v[112:113], v[110:111], s[30:31]
	v_mul_f64 v[110:111], v[110:111], s[46:47]
	v_fma_f64 v[118:119], v[124:125], s[4:5], -v[112:113]
	v_fma_f64 v[112:113], v[124:125], s[4:5], v[112:113]
	v_add_f64 v[98:99], v[118:119], v[98:99]
	v_mul_f64 v[118:119], v[108:109], s[30:31]
	v_add_f64 v[96:97], v[112:113], v[96:97]
	v_mul_f64 v[108:109], v[108:109], s[46:47]
	v_fma_f64 v[112:113], v[126:127], s[4:5], -v[118:119]
	v_fma_f64 v[120:121], v[126:127], s[4:5], v[118:119]
	v_add_f64 v[100:101], v[112:113], v[100:101]
	v_fma_f64 v[112:113], v[124:125], s[2:3], -v[110:111]
	v_fma_f64 v[110:111], v[124:125], s[2:3], v[110:111]
	v_add_f64 v[102:103], v[120:121], v[102:103]
	v_add_f64 v[104:105], v[112:113], v[104:105]
	v_fma_f64 v[112:113], v[126:127], s[2:3], v[108:109]
	v_add_f64 v[2:3], v[110:111], v[2:3]
	v_fma_f64 v[108:109], v[126:127], s[2:3], -v[108:109]
	v_add_f64 v[110:111], v[70:71], -v[50:51]
	v_add_f64 v[106:107], v[112:113], v[106:107]
	v_add_f64 v[0:1], v[108:109], v[0:1]
	v_add_f64 v[108:109], v[68:69], -v[48:49]
	v_mul_f64 v[112:113], v[110:111], s[38:39]
	buffer_store_dword v112, off, s[64:67], 0 offset:280 ; 4-byte Folded Spill
	s_nop 0
	buffer_store_dword v113, off, s[64:67], 0 offset:284 ; 4-byte Folded Spill
	v_mul_f64 v[118:119], v[108:109], s[38:39]
	buffer_store_dword v118, off, s[64:67], 0 offset:288 ; 4-byte Folded Spill
	s_nop 0
	buffer_store_dword v119, off, s[64:67], 0 offset:292 ; 4-byte Folded Spill
	v_fma_f64 v[112:113], v[152:153], s[4:5], v[112:113]
	v_add_f64 v[4:5], v[112:113], v[4:5]
	v_fma_f64 v[112:113], v[154:155], s[4:5], -v[118:119]
	v_mul_f64 v[118:119], v[108:109], s[28:29]
	v_add_f64 v[6:7], v[112:113], v[6:7]
	v_mul_f64 v[112:113], v[110:111], s[28:29]
	buffer_store_dword v112, off, s[64:67], 0 offset:296 ; 4-byte Folded Spill
	s_nop 0
	buffer_store_dword v113, off, s[64:67], 0 offset:300 ; 4-byte Folded Spill
	buffer_store_dword v118, off, s[64:67], 0 offset:344 ; 4-byte Folded Spill
	s_nop 0
	buffer_store_dword v119, off, s[64:67], 0 offset:348 ; 4-byte Folded Spill
	v_fma_f64 v[112:113], v[152:153], s[24:25], v[112:113]
	v_add_f64 v[8:9], v[112:113], v[8:9]
	v_fma_f64 v[112:113], v[154:155], s[24:25], -v[118:119]
	v_mul_f64 v[118:119], v[108:109], s[44:45]
	v_add_f64 v[10:11], v[112:113], v[10:11]
	v_mul_f64 v[112:113], v[110:111], s[44:45]
	buffer_store_dword v112, off, s[64:67], 0 offset:352 ; 4-byte Folded Spill
	s_nop 0
	buffer_store_dword v113, off, s[64:67], 0 offset:356 ; 4-byte Folded Spill
	buffer_store_dword v118, off, s[64:67], 0 offset:360 ; 4-byte Folded Spill
	s_nop 0
	buffer_store_dword v119, off, s[64:67], 0 offset:364 ; 4-byte Folded Spill
	s_mov_b32 s45, 0x3fe58eea
	s_mov_b32 s44, s48
	v_fma_f64 v[112:113], v[152:153], s[20:21], v[112:113]
	v_add_f64 v[80:81], v[112:113], v[80:81]
	v_fma_f64 v[112:113], v[154:155], s[20:21], -v[118:119]
	v_mul_f64 v[118:119], v[108:109], s[50:51]
	v_add_f64 v[82:83], v[112:113], v[82:83]
	v_mul_f64 v[112:113], v[110:111], s[50:51]
	buffer_store_dword v112, off, s[64:67], 0 offset:368 ; 4-byte Folded Spill
	s_nop 0
	buffer_store_dword v113, off, s[64:67], 0 offset:372 ; 4-byte Folded Spill
	buffer_store_dword v118, off, s[64:67], 0 offset:392 ; 4-byte Folded Spill
	s_nop 0
	buffer_store_dword v119, off, s[64:67], 0 offset:396 ; 4-byte Folded Spill
	v_fma_f64 v[112:113], v[152:153], s[18:19], v[112:113]
	v_add_f64 v[84:85], v[112:113], v[84:85]
	v_fma_f64 v[112:113], v[154:155], s[18:19], -v[118:119]
	v_mul_f64 v[118:119], v[108:109], s[44:45]
	v_add_f64 v[86:87], v[112:113], v[86:87]
	v_mul_f64 v[112:113], v[110:111], s[44:45]
	buffer_store_dword v112, off, s[64:67], 0 offset:408 ; 4-byte Folded Spill
	s_nop 0
	buffer_store_dword v113, off, s[64:67], 0 offset:412 ; 4-byte Folded Spill
	buffer_store_dword v118, off, s[64:67], 0 offset:416 ; 4-byte Folded Spill
	s_nop 0
	buffer_store_dword v119, off, s[64:67], 0 offset:420 ; 4-byte Folded Spill
	;; [unrolled: 12-line block ×3, first 2 shown]
	v_fma_f64 v[112:113], v[152:153], s[2:3], v[112:113]
	v_add_f64 v[92:93], v[112:113], v[92:93]
	v_fma_f64 v[112:113], v[154:155], s[2:3], -v[118:119]
	v_add_f64 v[94:95], v[112:113], v[94:95]
	v_mul_f64 v[112:113], v[110:111], s[42:43]
	v_mul_f64 v[110:111], v[110:111], s[34:35]
	v_fma_f64 v[118:119], v[152:153], s[10:11], -v[112:113]
	v_fma_f64 v[112:113], v[152:153], s[10:11], v[112:113]
	v_add_f64 v[98:99], v[118:119], v[98:99]
	v_mul_f64 v[118:119], v[108:109], s[42:43]
	v_add_f64 v[96:97], v[112:113], v[96:97]
	v_mul_f64 v[108:109], v[108:109], s[34:35]
	v_fma_f64 v[112:113], v[154:155], s[10:11], -v[118:119]
	v_fma_f64 v[120:121], v[154:155], s[10:11], v[118:119]
	v_add_f64 v[100:101], v[112:113], v[100:101]
	v_fma_f64 v[112:113], v[152:153], s[16:17], -v[110:111]
	v_fma_f64 v[110:111], v[152:153], s[16:17], v[110:111]
	v_add_f64 v[102:103], v[120:121], v[102:103]
	v_add_f64 v[104:105], v[112:113], v[104:105]
	v_fma_f64 v[112:113], v[154:155], s[16:17], v[108:109]
	v_add_f64 v[2:3], v[110:111], v[2:3]
	v_fma_f64 v[108:109], v[154:155], s[16:17], -v[108:109]
	v_add_f64 v[110:111], v[74:75], -v[46:47]
	v_add_f64 v[106:107], v[112:113], v[106:107]
	v_add_f64 v[0:1], v[108:109], v[0:1]
	v_add_f64 v[108:109], v[72:73], -v[44:45]
	v_mul_f64 v[112:113], v[110:111], s[42:43]
	buffer_store_dword v112, off, s[64:67], 0 offset:376 ; 4-byte Folded Spill
	s_nop 0
	buffer_store_dword v113, off, s[64:67], 0 offset:380 ; 4-byte Folded Spill
	v_mul_f64 v[118:119], v[108:109], s[42:43]
	buffer_store_dword v118, off, s[64:67], 0 offset:384 ; 4-byte Folded Spill
	s_nop 0
	buffer_store_dword v119, off, s[64:67], 0 offset:388 ; 4-byte Folded Spill
	v_mul_f64 v[221:222], v[108:109], s[46:47]
	v_mul_f64 v[223:224], v[110:111], s[38:39]
	;; [unrolled: 1-line block ×5, first 2 shown]
	v_fma_f64 v[112:113], v[178:179], s[10:11], v[112:113]
	v_add_f64 v[4:5], v[112:113], v[4:5]
	v_fma_f64 v[112:113], v[180:181], s[10:11], -v[118:119]
	v_mul_f64 v[118:119], v[108:109], s[36:37]
	v_add_f64 v[6:7], v[112:113], v[6:7]
	v_mul_f64 v[112:113], v[110:111], s[36:37]
	buffer_store_dword v112, off, s[64:67], 0 offset:400 ; 4-byte Folded Spill
	s_nop 0
	buffer_store_dword v113, off, s[64:67], 0 offset:404 ; 4-byte Folded Spill
	buffer_store_dword v118, off, s[64:67], 0 offset:440 ; 4-byte Folded Spill
	s_nop 0
	buffer_store_dword v119, off, s[64:67], 0 offset:444 ; 4-byte Folded Spill
	v_fma_f64 v[112:113], v[178:179], s[20:21], v[112:113]
	v_add_f64 v[8:9], v[112:113], v[8:9]
	v_fma_f64 v[112:113], v[180:181], s[20:21], -v[118:119]
	v_mul_f64 v[118:119], v[108:109], s[50:51]
	v_add_f64 v[10:11], v[112:113], v[10:11]
	v_mul_f64 v[112:113], v[110:111], s[50:51]
	buffer_store_dword v112, off, s[64:67], 0 offset:448 ; 4-byte Folded Spill
	s_nop 0
	buffer_store_dword v113, off, s[64:67], 0 offset:452 ; 4-byte Folded Spill
	buffer_store_dword v118, off, s[64:67], 0 offset:456 ; 4-byte Folded Spill
	s_nop 0
	buffer_store_dword v119, off, s[64:67], 0 offset:460 ; 4-byte Folded Spill
	v_fma_f64 v[112:113], v[178:179], s[18:19], v[112:113]
	v_add_f64 v[80:81], v[112:113], v[80:81]
	v_fma_f64 v[112:113], v[180:181], s[18:19], -v[118:119]
	v_add_f64 v[82:83], v[112:113], v[82:83]
	v_mul_f64 v[112:113], v[110:111], s[46:47]
	buffer_store_dword v112, off, s[64:67], 0 offset:488 ; 4-byte Folded Spill
	s_nop 0
	buffer_store_dword v113, off, s[64:67], 0 offset:492 ; 4-byte Folded Spill
	v_fma_f64 v[112:113], v[178:179], s[2:3], v[112:113]
	v_add_f64 v[84:85], v[112:113], v[84:85]
	v_fma_f64 v[112:113], v[180:181], s[2:3], -v[221:222]
	v_add_f64 v[86:87], v[112:113], v[86:87]
	v_fma_f64 v[112:113], v[178:179], s[4:5], v[223:224]
	v_add_f64 v[88:89], v[112:113], v[88:89]
	v_fma_f64 v[112:113], v[180:181], s[4:5], -v[225:226]
	v_add_f64 v[90:91], v[112:113], v[90:91]
	;; [unrolled: 4-line block ×3, first 2 shown]
	v_mul_f64 v[112:113], v[110:111], s[54:55]
	v_mul_f64 v[110:111], v[110:111], s[44:45]
	v_fma_f64 v[118:119], v[178:179], s[24:25], -v[112:113]
	v_fma_f64 v[112:113], v[178:179], s[24:25], v[112:113]
	v_add_f64 v[98:99], v[118:119], v[98:99]
	v_mul_f64 v[118:119], v[108:109], s[54:55]
	v_add_f64 v[96:97], v[112:113], v[96:97]
	v_mul_f64 v[108:109], v[108:109], s[44:45]
	v_fma_f64 v[112:113], v[180:181], s[24:25], -v[118:119]
	v_fma_f64 v[120:121], v[180:181], s[24:25], v[118:119]
	v_add_f64 v[100:101], v[112:113], v[100:101]
	v_fma_f64 v[112:113], v[178:179], s[22:23], -v[110:111]
	v_add_f64 v[102:103], v[120:121], v[102:103]
	v_fma_f64 v[110:111], v[178:179], s[22:23], v[110:111]
	v_add_f64 v[120:121], v[78:79], -v[42:43]
	v_add_f64 v[104:105], v[112:113], v[104:105]
	v_fma_f64 v[112:113], v[180:181], s[22:23], v[108:109]
	v_fma_f64 v[108:109], v[180:181], s[22:23], -v[108:109]
	v_add_f64 v[2:3], v[110:111], v[2:3]
	v_add_f64 v[110:111], v[76:77], -v[40:41]
	v_mul_f64 v[237:238], v[120:121], s[44:45]
	v_mul_f64 v[245:246], v[120:121], s[38:39]
	;; [unrolled: 1-line block ×3, first 2 shown]
	v_add_f64 v[106:107], v[112:113], v[106:107]
	v_add_f64 v[0:1], v[108:109], v[0:1]
	v_mul_f64 v[108:109], v[120:121], s[26:27]
	v_mul_f64 v[112:113], v[110:111], s[26:27]
	buffer_store_dword v108, off, s[64:67], 0 offset:464 ; 4-byte Folded Spill
	s_nop 0
	buffer_store_dword v109, off, s[64:67], 0 offset:468 ; 4-byte Folded Spill
	buffer_store_dword v112, off, s[64:67], 0 offset:472 ; 4-byte Folded Spill
	s_nop 0
	buffer_store_dword v113, off, s[64:67], 0 offset:476 ; 4-byte Folded Spill
	v_mul_f64 v[227:228], v[110:111], s[52:53]
	v_mul_f64 v[239:240], v[110:111], s[44:45]
	;; [unrolled: 1-line block ×3, first 2 shown]
	s_mov_b32 s39, 0x3fefdd0d
	s_mov_b32 s38, s42
	v_mul_f64 v[118:119], v[110:111], s[38:39]
	v_fma_f64 v[108:109], v[207:208], s[18:19], v[108:109]
	v_add_f64 v[4:5], v[108:109], v[4:5]
	v_fma_f64 v[108:109], v[209:210], s[18:19], -v[112:113]
	v_fma_f64 v[112:113], v[207:208], s[20:21], v[251:252]
	v_add_f64 v[6:7], v[108:109], v[6:7]
	v_mul_f64 v[108:109], v[120:121], s[52:53]
	buffer_store_dword v108, off, s[64:67], 0 offset:496 ; 4-byte Folded Spill
	s_nop 0
	buffer_store_dword v109, off, s[64:67], 0 offset:500 ; 4-byte Folded Spill
	v_add_f64 v[88:89], v[112:113], v[88:89]
	s_waitcnt vmcnt(0) lgkmcnt(0)
	s_barrier
	v_fma_f64 v[108:109], v[207:208], s[16:17], v[108:109]
	v_add_f64 v[8:9], v[108:109], v[8:9]
	v_fma_f64 v[108:109], v[209:210], s[16:17], -v[227:228]
	v_add_f64 v[10:11], v[108:109], v[10:11]
	v_fma_f64 v[108:109], v[207:208], s[22:23], v[237:238]
	v_add_f64 v[80:81], v[108:109], v[80:81]
	v_fma_f64 v[108:109], v[209:210], s[22:23], -v[239:240]
	v_add_f64 v[82:83], v[108:109], v[82:83]
	;; [unrolled: 4-line block ×3, first 2 shown]
	v_mul_f64 v[108:109], v[110:111], s[36:37]
	v_fma_f64 v[112:113], v[209:210], s[20:21], -v[108:109]
	v_add_f64 v[90:91], v[112:113], v[90:91]
	v_mul_f64 v[112:113], v[120:121], s[38:39]
	v_fma_f64 v[122:123], v[207:208], s[10:11], v[112:113]
	v_add_f64 v[92:93], v[122:123], v[92:93]
	v_fma_f64 v[122:123], v[209:210], s[10:11], -v[118:119]
	v_add_f64 v[94:95], v[122:123], v[94:95]
	v_mul_f64 v[122:123], v[120:121], s[40:41]
	v_mul_f64 v[120:121], v[120:121], s[28:29]
	v_fma_f64 v[128:129], v[207:208], s[2:3], -v[122:123]
	v_fma_f64 v[122:123], v[207:208], s[2:3], v[122:123]
	v_add_f64 v[98:99], v[128:129], v[98:99]
	v_mul_f64 v[128:129], v[110:111], s[40:41]
	v_add_f64 v[96:97], v[122:123], v[96:97]
	v_mul_f64 v[110:111], v[110:111], s[28:29]
	v_fma_f64 v[122:123], v[209:210], s[2:3], -v[128:129]
	v_fma_f64 v[130:131], v[209:210], s[2:3], v[128:129]
	v_add_f64 v[100:101], v[122:123], v[100:101]
	v_fma_f64 v[122:123], v[207:208], s[24:25], -v[120:121]
	v_fma_f64 v[120:121], v[207:208], s[24:25], v[120:121]
	v_add_f64 v[102:103], v[130:131], v[102:103]
	v_add_f64 v[104:105], v[122:123], v[104:105]
	v_fma_f64 v[122:123], v[209:210], s[24:25], v[110:111]
	v_add_f64 v[2:3], v[120:121], v[2:3]
	v_fma_f64 v[110:111], v[209:210], s[24:25], -v[110:111]
	v_add_f64 v[120:121], v[24:25], -v[36:37]
	v_add_f64 v[106:107], v[122:123], v[106:107]
	v_add_f64 v[122:123], v[26:27], -v[38:39]
	v_add_f64 v[0:1], v[110:111], v[0:1]
	v_mul_f64 v[243:244], v[120:121], s[28:29]
	v_mul_f64 v[138:139], v[120:121], s[34:35]
	;; [unrolled: 1-line block ×10, first 2 shown]
	v_fma_f64 v[110:111], v[233:234], s[24:25], v[241:242]
	v_fma_f64 v[128:129], v[233:234], s[18:19], v[247:248]
	;; [unrolled: 1-line block ×3, first 2 shown]
	v_add_f64 v[4:5], v[110:111], v[4:5]
	v_fma_f64 v[110:111], v[235:236], s[24:25], -v[243:244]
	v_add_f64 v[8:9], v[128:129], v[8:9]
	v_add_f64 v[80:81], v[130:131], v[80:81]
	;; [unrolled: 1-line block ×3, first 2 shown]
	v_mul_f64 v[110:111], v[120:121], s[50:51]
	v_fma_f64 v[128:129], v[235:236], s[18:19], -v[110:111]
	v_add_f64 v[10:11], v[128:129], v[10:11]
	v_mul_f64 v[128:129], v[120:121], s[40:41]
	v_fma_f64 v[130:131], v[235:236], s[2:3], -v[128:129]
	v_add_f64 v[82:83], v[130:131], v[82:83]
	v_fma_f64 v[130:131], v[233:234], s[16:17], v[136:137]
	v_add_f64 v[84:85], v[130:131], v[84:85]
	v_fma_f64 v[130:131], v[235:236], s[16:17], -v[138:139]
	v_add_f64 v[86:87], v[130:131], v[86:87]
	v_fma_f64 v[130:131], v[233:234], s[10:11], v[144:145]
	v_add_f64 v[88:89], v[130:131], v[88:89]
	;; [unrolled: 4-line block ×3, first 2 shown]
	v_fma_f64 v[130:131], v[235:236], s[22:23], -v[158:159]
	v_add_f64 v[94:95], v[130:131], v[94:95]
	v_mul_f64 v[130:131], v[122:123], s[36:37]
	v_mul_f64 v[122:123], v[122:123], s[30:31]
	v_fma_f64 v[132:133], v[233:234], s[20:21], -v[130:131]
	v_fma_f64 v[130:131], v[233:234], s[20:21], v[130:131]
	v_add_f64 v[98:99], v[132:133], v[98:99]
	v_mul_f64 v[132:133], v[120:121], s[36:37]
	v_add_f64 v[96:97], v[130:131], v[96:97]
	v_mul_f64 v[120:121], v[120:121], s[30:31]
	v_fma_f64 v[130:131], v[235:236], s[20:21], -v[132:133]
	v_fma_f64 v[134:135], v[235:236], s[20:21], v[132:133]
	v_mul_f64 v[132:133], v[150:151], s[34:35]
	v_add_f64 v[100:101], v[130:131], v[100:101]
	v_fma_f64 v[130:131], v[233:234], s[4:5], -v[122:123]
	v_fma_f64 v[122:123], v[233:234], s[4:5], v[122:123]
	v_add_f64 v[102:103], v[134:135], v[102:103]
	v_add_f64 v[104:105], v[130:131], v[104:105]
	v_fma_f64 v[130:131], v[235:236], s[4:5], v[120:121]
	v_fma_f64 v[120:121], v[235:236], s[4:5], -v[120:121]
	v_add_f64 v[2:3], v[122:123], v[2:3]
	v_add_f64 v[122:123], v[18:19], v[34:35]
	;; [unrolled: 1-line block ×5, first 2 shown]
	v_mul_f64 v[130:131], v[156:157], s[34:35]
	v_fma_f64 v[134:135], v[120:121], s[16:17], v[130:131]
	v_add_f64 v[4:5], v[134:135], v[4:5]
	v_fma_f64 v[134:135], v[122:123], s[16:17], -v[132:133]
	v_add_f64 v[6:7], v[134:135], v[6:7]
	v_mul_f64 v[134:135], v[156:157], s[30:31]
	v_fma_f64 v[142:143], v[120:121], s[4:5], v[134:135]
	v_add_f64 v[8:9], v[142:143], v[8:9]
	v_fma_f64 v[142:143], v[122:123], s[4:5], -v[140:141]
	v_add_f64 v[10:11], v[142:143], v[10:11]
	v_mul_f64 v[142:143], v[156:157], s[42:43]
	v_fma_f64 v[162:163], v[120:121], s[10:11], v[142:143]
	v_add_f64 v[190:191], v[162:163], v[80:81]
	v_fma_f64 v[80:81], v[122:123], s[10:11], -v[160:161]
	v_mul_f64 v[162:163], v[156:157], s[44:45]
	v_mul_f64 v[156:157], v[156:157], s[26:27]
	v_add_f64 v[192:193], v[80:81], v[82:83]
	v_fma_f64 v[80:81], v[120:121], s[24:25], v[166:167]
	v_fma_f64 v[82:83], v[122:123], s[24:25], -v[168:169]
	v_add_f64 v[80:81], v[80:81], v[84:85]
	v_fma_f64 v[84:85], v[120:121], s[2:3], v[170:171]
	v_add_f64 v[82:83], v[82:83], v[86:87]
	v_fma_f64 v[86:87], v[122:123], s[2:3], -v[172:173]
	v_add_f64 v[84:85], v[84:85], v[88:89]
	v_fma_f64 v[88:89], v[120:121], s[20:21], v[176:177]
	v_add_f64 v[86:87], v[86:87], v[90:91]
	v_add_f64 v[92:93], v[88:89], v[92:93]
	v_fma_f64 v[88:89], v[122:123], s[20:21], -v[182:183]
	v_add_f64 v[94:95], v[88:89], v[94:95]
	v_fma_f64 v[88:89], v[120:121], s[22:23], -v[162:163]
	v_add_f64 v[88:89], v[88:89], v[98:99]
	v_mul_f64 v[98:99], v[150:151], s[44:45]
	v_mul_f64 v[150:151], v[150:151], s[26:27]
	v_fma_f64 v[90:91], v[122:123], s[22:23], v[98:99]
	v_fma_f64 v[98:99], v[122:123], s[22:23], -v[98:99]
	v_add_f64 v[90:91], v[90:91], v[102:103]
	v_add_f64 v[98:99], v[98:99], v[100:101]
	v_fma_f64 v[100:101], v[120:121], s[18:19], -v[156:157]
	v_fma_f64 v[102:103], v[120:121], s[22:23], v[162:163]
	v_mul_f64 v[162:163], v[200:201], s[36:37]
	v_add_f64 v[100:101], v[100:101], v[104:105]
	v_fma_f64 v[104:105], v[120:121], s[18:19], v[156:157]
	v_add_f64 v[96:97], v[102:103], v[96:97]
	v_fma_f64 v[102:103], v[122:123], s[18:19], v[150:151]
	v_add_f64 v[156:157], v[22:23], v[30:31]
	v_add_f64 v[104:105], v[104:105], v[2:3]
	v_fma_f64 v[2:3], v[122:123], s[18:19], -v[150:151]
	v_add_f64 v[150:151], v[20:21], v[28:29]
	v_add_f64 v[102:103], v[102:103], v[106:107]
	;; [unrolled: 1-line block ×3, first 2 shown]
	v_fma_f64 v[0:1], v[150:151], s[20:21], v[162:163]
	v_fma_f64 v[2:3], v[156:157], s[20:21], -v[164:165]
	v_add_f64 v[0:1], v[0:1], v[4:5]
	v_fma_f64 v[4:5], v[150:151], s[2:3], v[174:175]
	v_add_f64 v[2:3], v[2:3], v[6:7]
	v_fma_f64 v[6:7], v[156:157], s[2:3], -v[184:185]
	v_add_f64 v[196:197], v[4:5], v[8:9]
	v_fma_f64 v[8:9], v[150:151], s[16:17], v[186:187]
	v_add_f64 v[198:199], v[6:7], v[10:11]
	v_fma_f64 v[10:11], v[156:157], s[16:17], -v[188:189]
	v_mov_b32_e32 v5, v3
	v_mov_b32_e32 v4, v2
	;; [unrolled: 1-line block ×4, first 2 shown]
	v_add_f64 v[217:218], v[8:9], v[190:191]
	v_mul_f64 v[190:191], v[200:201], s[44:45]
	v_mov_b32_e32 v6, v196
	v_mov_b32_e32 v7, v197
	;; [unrolled: 1-line block ×4, first 2 shown]
	v_add_f64 v[219:220], v[10:11], v[192:193]
	v_mul_f64 v[192:193], v[194:195], s[44:45]
	v_mul_f64 v[198:199], v[194:195], s[28:29]
	v_fma_f64 v[196:197], v[150:151], s[22:23], v[190:191]
	v_add_f64 v[80:81], v[196:197], v[80:81]
	v_fma_f64 v[196:197], v[156:157], s[22:23], -v[192:193]
	v_add_f64 v[82:83], v[196:197], v[82:83]
	v_mul_f64 v[196:197], v[200:201], s[28:29]
	v_fma_f64 v[202:203], v[150:151], s[24:25], v[196:197]
	v_add_f64 v[84:85], v[202:203], v[84:85]
	v_fma_f64 v[202:203], v[156:157], s[24:25], -v[198:199]
	v_add_f64 v[86:87], v[202:203], v[86:87]
	;; [unrolled: 5-line block ×3, first 2 shown]
	v_mul_f64 v[211:212], v[200:201], s[26:27]
	v_mul_f64 v[200:201], v[200:201], s[38:39]
	v_fma_f64 v[213:214], v[150:151], s[18:19], -v[211:212]
	v_fma_f64 v[211:212], v[150:151], s[18:19], v[211:212]
	v_add_f64 v[88:89], v[213:214], v[88:89]
	v_mul_f64 v[213:214], v[194:195], s[26:27]
	v_add_f64 v[96:97], v[211:212], v[96:97]
	v_mul_f64 v[194:195], v[194:195], s[38:39]
	v_fma_f64 v[211:212], v[156:157], s[18:19], -v[213:214]
	v_fma_f64 v[215:216], v[156:157], s[18:19], v[213:214]
	v_add_f64 v[98:99], v[211:212], v[98:99]
	v_fma_f64 v[211:212], v[150:151], s[10:11], -v[200:201]
	v_fma_f64 v[200:201], v[150:151], s[10:11], v[200:201]
	v_add_f64 v[90:91], v[215:216], v[90:91]
	v_add_f64 v[100:101], v[211:212], v[100:101]
	v_fma_f64 v[211:212], v[156:157], s[10:11], v[194:195]
	v_fma_f64 v[194:195], v[156:157], s[10:11], -v[194:195]
	v_add_f64 v[104:105], v[200:201], v[104:105]
	v_add_f64 v[102:103], v[211:212], v[102:103]
	;; [unrolled: 1-line block ×3, first 2 shown]
	buffer_load_dword v194, off, s[64:67], 0 offset:8 ; 4-byte Folded Reload
	s_waitcnt vmcnt(0)
	v_mul_lo_u16_e32 v0, 17, v194
	buffer_store_dword v0, off, s[64:67], 0 offset:124 ; 4-byte Folded Spill
	s_and_saveexec_b64 s[26:27], s[0:1]
	s_cbranch_execz .LBB0_7
; %bb.6:
	buffer_load_dword v0, off, s[64:67], 0 offset:432 ; 4-byte Folded Reload
	buffer_load_dword v1, off, s[64:67], 0 offset:436 ; 4-byte Folded Reload
	v_add_f64 v[62:63], v[14:15], v[62:63]
	v_add_f64 v[60:61], v[12:13], v[60:61]
	v_mul_f64 v[194:195], v[207:208], s[18:19]
	v_mul_f64 v[200:201], v[209:210], s[16:17]
	v_add_f64 v[62:63], v[62:63], v[66:67]
	v_add_f64 v[60:61], v[60:61], v[64:65]
	v_mul_f64 v[64:65], v[122:123], s[20:21]
	v_add_f64 v[200:201], v[227:228], v[200:201]
	v_add_f64 v[62:63], v[62:63], v[70:71]
	;; [unrolled: 1-line block ×3, first 2 shown]
	v_mul_f64 v[68:69], v[235:236], s[22:23]
	v_mul_f64 v[70:71], v[209:210], s[10:11]
	v_add_f64 v[64:65], v[182:183], v[64:65]
	v_mul_f64 v[182:183], v[152:153], s[24:25]
	v_add_f64 v[62:63], v[62:63], v[74:75]
	;; [unrolled: 2-line block ×3, first 2 shown]
	v_add_f64 v[68:69], v[158:159], v[68:69]
	v_mul_f64 v[158:159], v[114:115], s[24:25]
	v_mul_f64 v[72:73], v[180:181], s[16:17]
	v_add_f64 v[70:71], v[118:119], v[70:71]
	v_mul_f64 v[118:119], v[150:151], s[4:5]
	v_add_f64 v[62:63], v[62:63], v[78:79]
	;; [unrolled: 2-line block ×3, first 2 shown]
	v_mul_f64 v[76:77], v[126:127], s[18:19]
	v_mul_f64 v[60:61], v[156:157], s[4:5]
	v_add_f64 v[72:73], v[231:232], v[72:73]
	v_add_f64 v[118:119], v[118:119], -v[202:203]
	v_add_f64 v[26:27], v[62:63], v[26:27]
	v_mul_f64 v[202:203], v[235:236], s[24:25]
	v_add_f64 v[24:25], v[66:67], v[24:25]
	v_add_f64 v[60:61], v[204:205], v[60:61]
	v_mul_f64 v[204:205], v[235:236], s[18:19]
	v_add_f64 v[18:19], v[26:27], v[18:19]
	v_add_f64 v[16:17], v[24:25], v[16:17]
	;; [unrolled: 1-line block ×3, first 2 shown]
	v_mul_f64 v[204:205], v[156:157], s[2:3]
	v_add_f64 v[18:19], v[18:19], v[22:23]
	v_add_f64 v[16:17], v[16:17], v[20:21]
	;; [unrolled: 1-line block ×6, first 2 shown]
	s_waitcnt vmcnt(0)
	v_add_f64 v[74:75], v[0:1], v[74:75]
	buffer_load_dword v0, off, s[64:67], 0 offset:336 ; 4-byte Folded Reload
	buffer_load_dword v1, off, s[64:67], 0 offset:340 ; 4-byte Folded Reload
	v_add_f64 v[18:19], v[18:19], v[38:39]
	v_add_f64 v[16:17], v[16:17], v[36:37]
	;; [unrolled: 1-line block ×10, first 2 shown]
	s_waitcnt vmcnt(0)
	v_add_f64 v[76:77], v[0:1], v[76:77]
	buffer_load_dword v0, off, s[64:67], 0 offset:216 ; 4-byte Folded Reload
	buffer_load_dword v1, off, s[64:67], 0 offset:220 ; 4-byte Folded Reload
	s_waitcnt vmcnt(0)
	v_add_f64 v[78:79], v[0:1], v[78:79]
	buffer_load_dword v0, off, s[64:67], 0 offset:424 ; 4-byte Folded Reload
	buffer_load_dword v1, off, s[64:67], 0 offset:428 ; 4-byte Folded Reload
	v_add_f64 v[78:79], v[14:15], v[78:79]
	v_add_f64 v[76:77], v[76:77], v[78:79]
	v_mul_f64 v[78:79], v[120:121], s[20:21]
	v_add_f64 v[74:75], v[74:75], v[76:77]
	v_mul_f64 v[76:77], v[152:153], s[2:3]
	v_add_f64 v[78:79], v[78:79], -v[176:177]
	v_mul_f64 v[176:177], v[124:125], s[18:19]
	v_add_f64 v[72:73], v[72:73], v[74:75]
	v_add_f64 v[70:71], v[70:71], v[72:73]
	v_mul_f64 v[72:73], v[233:234], s[22:23]
	v_add_f64 v[68:69], v[68:69], v[70:71]
	v_add_f64 v[72:73], v[72:73], -v[148:149]
	v_mul_f64 v[148:149], v[126:127], s[24:25]
	v_add_f64 v[64:65], v[64:65], v[68:69]
	v_mul_f64 v[68:69], v[180:181], s[4:5]
	v_add_f64 v[60:61], v[60:61], v[64:65]
	v_add_f64 v[68:69], v[225:226], v[68:69]
	s_waitcnt vmcnt(0)
	v_add_f64 v[76:77], v[76:77], -v[0:1]
	buffer_load_dword v0, off, s[64:67], 0 offset:200 ; 4-byte Folded Reload
	buffer_load_dword v1, off, s[64:67], 0 offset:204 ; 4-byte Folded Reload
	s_waitcnt vmcnt(0)
	v_add_f64 v[158:159], v[158:159], -v[0:1]
	buffer_load_dword v0, off, s[64:67], 0 offset:328 ; 4-byte Folded Reload
	buffer_load_dword v1, off, s[64:67], 0 offset:332 ; 4-byte Folded Reload
	v_add_f64 v[74:75], v[12:13], v[158:159]
	v_mul_f64 v[158:159], v[178:179], s[16:17]
	v_add_f64 v[158:159], v[158:159], -v[229:230]
	s_waitcnt vmcnt(0)
	v_add_f64 v[176:177], v[176:177], -v[0:1]
	buffer_load_dword v0, off, s[64:67], 0 offset:416 ; 4-byte Folded Reload
	buffer_load_dword v1, off, s[64:67], 0 offset:420 ; 4-byte Folded Reload
	v_add_f64 v[74:75], v[176:177], v[74:75]
	v_mul_f64 v[176:177], v[154:155], s[4:5]
	v_add_f64 v[74:75], v[76:77], v[74:75]
	v_mul_f64 v[76:77], v[207:208], s[10:11]
	v_add_f64 v[74:75], v[158:159], v[74:75]
	v_add_f64 v[76:77], v[76:77], -v[112:113]
	v_mul_f64 v[112:113], v[126:127], s[20:21]
	v_mul_f64 v[158:159], v[120:121], s[24:25]
	v_add_f64 v[74:75], v[76:77], v[74:75]
	v_mul_f64 v[76:77], v[154:155], s[22:23]
	v_add_f64 v[158:159], v[158:159], -v[166:167]
	v_mul_f64 v[166:167], v[235:236], s[2:3]
	v_add_f64 v[70:71], v[72:73], v[74:75]
	v_mul_f64 v[72:73], v[116:117], s[18:19]
	v_mul_f64 v[74:75], v[126:127], s[16:17]
	v_add_f64 v[128:129], v[128:129], v[166:167]
	v_mul_f64 v[166:167], v[122:123], s[10:11]
	v_add_f64 v[70:71], v[78:79], v[70:71]
	;; [unrolled: 2-line block ×3, first 2 shown]
	v_mul_f64 v[166:167], v[126:127], s[22:23]
	v_mul_f64 v[126:127], v[126:127], s[10:11]
	s_waitcnt vmcnt(0)
	v_add_f64 v[76:77], v[0:1], v[76:77]
	buffer_load_dword v0, off, s[64:67], 0 offset:144 ; 4-byte Folded Reload
	buffer_load_dword v1, off, s[64:67], 0 offset:148 ; 4-byte Folded Reload
	s_waitcnt vmcnt(0)
	v_add_f64 v[72:73], v[0:1], v[72:73]
	buffer_load_dword v0, off, s[64:67], 0 offset:320 ; 4-byte Folded Reload
	buffer_load_dword v1, off, s[64:67], 0 offset:324 ; 4-byte Folded Reload
	v_add_f64 v[72:73], v[14:15], v[72:73]
	s_waitcnt vmcnt(0)
	v_add_f64 v[74:75], v[0:1], v[74:75]
	buffer_load_dword v0, off, s[64:67], 0 offset:408 ; 4-byte Folded Reload
	buffer_load_dword v1, off, s[64:67], 0 offset:412 ; 4-byte Folded Reload
	v_add_f64 v[72:73], v[74:75], v[72:73]
	v_mul_f64 v[74:75], v[209:210], s[20:21]
	v_add_f64 v[72:73], v[76:77], v[72:73]
	v_add_f64 v[74:75], v[108:109], v[74:75]
	v_mul_f64 v[76:77], v[114:115], s[18:19]
	v_mul_f64 v[108:109], v[116:117], s[10:11]
	v_add_f64 v[68:69], v[68:69], v[72:73]
	v_mul_f64 v[72:73], v[235:236], s[10:11]
	v_add_f64 v[68:69], v[74:75], v[68:69]
	v_add_f64 v[72:73], v[146:147], v[72:73]
	v_mul_f64 v[74:75], v[122:123], s[2:3]
	v_mul_f64 v[146:147], v[116:117], s[4:5]
	v_add_f64 v[68:69], v[72:73], v[68:69]
	v_add_f64 v[74:75], v[172:173], v[74:75]
	v_mul_f64 v[172:173], v[152:153], s[4:5]
	v_mul_f64 v[72:73], v[156:157], s[24:25]
	v_add_f64 v[68:69], v[74:75], v[68:69]
	v_mul_f64 v[74:75], v[152:153], s[22:23]
	v_add_f64 v[72:73], v[198:199], v[72:73]
	;; [unrolled: 2-line block ×3, first 2 shown]
	s_waitcnt vmcnt(0)
	v_add_f64 v[74:75], v[74:75], -v[0:1]
	buffer_load_dword v0, off, s[64:67], 0 offset:128 ; 4-byte Folded Reload
	buffer_load_dword v1, off, s[64:67], 0 offset:132 ; 4-byte Folded Reload
	s_waitcnt vmcnt(0)
	v_add_f64 v[76:77], v[76:77], -v[0:1]
	buffer_load_dword v0, off, s[64:67], 0 offset:312 ; 4-byte Folded Reload
	buffer_load_dword v1, off, s[64:67], 0 offset:316 ; 4-byte Folded Reload
	v_add_f64 v[76:77], v[12:13], v[76:77]
	s_waitcnt vmcnt(0)
	v_add_f64 v[78:79], v[78:79], -v[0:1]
	buffer_load_dword v0, off, s[64:67], 0 offset:392 ; 4-byte Folded Reload
	buffer_load_dword v1, off, s[64:67], 0 offset:396 ; 4-byte Folded Reload
	v_add_f64 v[76:77], v[78:79], v[76:77]
	v_mul_f64 v[78:79], v[178:179], s[4:5]
	v_add_f64 v[74:75], v[74:75], v[76:77]
	v_add_f64 v[78:79], v[78:79], -v[223:224]
	v_mul_f64 v[76:77], v[207:208], s[20:21]
	v_add_f64 v[74:75], v[78:79], v[74:75]
	v_add_f64 v[76:77], v[76:77], -v[251:252]
	;; [unrolled: 3-line block ×3, first 2 shown]
	v_mul_f64 v[76:77], v[120:121], s[2:3]
	v_mul_f64 v[144:145], v[124:125], s[20:21]
	v_add_f64 v[74:75], v[78:79], v[74:75]
	v_add_f64 v[76:77], v[76:77], -v[170:171]
	v_mul_f64 v[170:171], v[207:208], s[22:23]
	v_mul_f64 v[78:79], v[150:151], s[24:25]
	v_add_f64 v[74:75], v[76:77], v[74:75]
	v_mul_f64 v[76:77], v[154:155], s[18:19]
	v_add_f64 v[170:171], v[170:171], -v[237:238]
	v_add_f64 v[78:79], v[78:79], -v[196:197]
	v_mul_f64 v[196:197], v[209:210], s[18:19]
	s_waitcnt vmcnt(0)
	v_add_f64 v[76:77], v[0:1], v[76:77]
	buffer_load_dword v0, off, s[64:67], 0 offset:116 ; 4-byte Folded Reload
	buffer_load_dword v1, off, s[64:67], 0 offset:120 ; 4-byte Folded Reload
	s_waitcnt vmcnt(0)
	v_add_f64 v[108:109], v[0:1], v[108:109]
	buffer_load_dword v0, off, s[64:67], 0 offset:272 ; 4-byte Folded Reload
	buffer_load_dword v1, off, s[64:67], 0 offset:276 ; 4-byte Folded Reload
	v_add_f64 v[108:109], v[14:15], v[108:109]
	s_waitcnt vmcnt(0)
	v_add_f64 v[112:113], v[0:1], v[112:113]
	buffer_load_dword v0, off, s[64:67], 0 offset:368 ; 4-byte Folded Reload
	buffer_load_dword v1, off, s[64:67], 0 offset:372 ; 4-byte Folded Reload
	v_add_f64 v[108:109], v[112:113], v[108:109]
	v_mul_f64 v[112:113], v[180:181], s[2:3]
	v_add_f64 v[76:77], v[76:77], v[108:109]
	v_add_f64 v[112:113], v[221:222], v[112:113]
	v_mul_f64 v[108:109], v[209:210], s[4:5]
	v_add_f64 v[76:77], v[112:113], v[76:77]
	;; [unrolled: 3-line block ×3, first 2 shown]
	v_add_f64 v[112:113], v[138:139], v[112:113]
	v_mul_f64 v[108:109], v[122:123], s[24:25]
	v_mul_f64 v[138:139], v[114:115], s[10:11]
	v_add_f64 v[76:77], v[112:113], v[76:77]
	v_add_f64 v[108:109], v[168:169], v[108:109]
	v_mul_f64 v[168:169], v[116:117], s[2:3]
	v_mul_f64 v[116:117], v[116:117], s[22:23]
	;; [unrolled: 1-line block ×3, first 2 shown]
	v_add_f64 v[76:77], v[108:109], v[76:77]
	v_mul_f64 v[108:109], v[233:234], s[16:17]
	v_add_f64 v[112:113], v[192:193], v[112:113]
	v_mul_f64 v[192:193], v[180:181], s[10:11]
	v_add_f64 v[108:109], v[108:109], -v[136:137]
	v_mul_f64 v[136:137], v[152:153], s[18:19]
	v_mul_f64 v[152:153], v[152:153], s[20:21]
	v_add_f64 v[68:69], v[112:113], v[76:77]
	s_waitcnt vmcnt(0)
	v_add_f64 v[136:137], v[136:137], -v[0:1]
	buffer_load_dword v0, off, s[64:67], 0 offset:108 ; 4-byte Folded Reload
	buffer_load_dword v1, off, s[64:67], 0 offset:112 ; 4-byte Folded Reload
	s_waitcnt vmcnt(0)
	v_add_f64 v[138:139], v[138:139], -v[0:1]
	buffer_load_dword v0, off, s[64:67], 0 offset:264 ; 4-byte Folded Reload
	buffer_load_dword v1, off, s[64:67], 0 offset:268 ; 4-byte Folded Reload
	v_add_f64 v[138:139], v[12:13], v[138:139]
	s_waitcnt vmcnt(0)
	v_add_f64 v[144:145], v[144:145], -v[0:1]
	buffer_load_dword v0, off, s[64:67], 0 offset:488 ; 4-byte Folded Reload
	buffer_load_dword v1, off, s[64:67], 0 offset:492 ; 4-byte Folded Reload
	v_add_f64 v[138:139], v[144:145], v[138:139]
	v_mul_f64 v[144:145], v[178:179], s[2:3]
	v_add_f64 v[136:137], v[136:137], v[138:139]
	v_mul_f64 v[138:139], v[207:208], s[4:5]
	v_mul_f64 v[206:207], v[233:234], s[2:3]
	v_add_f64 v[138:139], v[138:139], -v[245:246]
	v_add_f64 v[66:67], v[206:207], -v[253:254]
	s_waitcnt vmcnt(0)
	v_add_f64 v[144:145], v[144:145], -v[0:1]
	buffer_load_dword v0, off, s[64:67], 0 offset:360 ; 4-byte Folded Reload
	buffer_load_dword v1, off, s[64:67], 0 offset:364 ; 4-byte Folded Reload
	v_add_f64 v[136:137], v[144:145], v[136:137]
	v_mul_f64 v[144:145], v[154:155], s[20:21]
	v_mul_f64 v[154:155], v[154:155], s[24:25]
	v_add_f64 v[136:137], v[138:139], v[136:137]
	v_mul_f64 v[138:139], v[114:115], s[2:3]
	v_add_f64 v[108:109], v[108:109], v[136:137]
	v_mul_f64 v[136:137], v[114:115], s[22:23]
	v_mul_f64 v[114:115], v[114:115], s[4:5]
	v_add_f64 v[108:109], v[158:159], v[108:109]
	v_mul_f64 v[158:159], v[178:179], s[18:19]
	s_waitcnt vmcnt(0)
	v_add_f64 v[144:145], v[0:1], v[144:145]
	buffer_load_dword v0, off, s[64:67], 0 offset:92 ; 4-byte Folded Reload
	buffer_load_dword v1, off, s[64:67], 0 offset:96 ; 4-byte Folded Reload
	s_waitcnt vmcnt(0)
	v_add_f64 v[146:147], v[0:1], v[146:147]
	buffer_load_dword v0, off, s[64:67], 0 offset:256 ; 4-byte Folded Reload
	buffer_load_dword v1, off, s[64:67], 0 offset:260 ; 4-byte Folded Reload
	v_add_f64 v[146:147], v[14:15], v[146:147]
	s_waitcnt vmcnt(0)
	v_add_f64 v[148:149], v[0:1], v[148:149]
	buffer_load_dword v0, off, s[64:67], 0 offset:456 ; 4-byte Folded Reload
	buffer_load_dword v1, off, s[64:67], 0 offset:460 ; 4-byte Folded Reload
	v_add_f64 v[146:147], v[148:149], v[146:147]
	v_mul_f64 v[148:149], v[180:181], s[18:19]
	v_mul_f64 v[180:181], v[180:181], s[20:21]
	v_add_f64 v[144:145], v[144:145], v[146:147]
	v_mul_f64 v[146:147], v[209:210], s[22:23]
	v_mul_f64 v[208:209], v[122:123], s[16:17]
	;; [unrolled: 1-line block ×5, first 2 shown]
	v_add_f64 v[146:147], v[239:240], v[146:147]
	v_add_f64 v[62:63], v[188:189], v[156:157]
	s_waitcnt vmcnt(0)
	v_add_f64 v[148:149], v[0:1], v[148:149]
	buffer_load_dword v0, off, s[64:67], 0 offset:448 ; 4-byte Folded Reload
	buffer_load_dword v1, off, s[64:67], 0 offset:452 ; 4-byte Folded Reload
	v_add_f64 v[144:145], v[148:149], v[144:145]
	v_mul_f64 v[148:149], v[150:151], s[22:23]
	v_add_f64 v[144:145], v[146:147], v[144:145]
	v_mul_f64 v[146:147], v[124:125], s[22:23]
	v_add_f64 v[148:149], v[148:149], -v[190:191]
	v_mul_f64 v[190:191], v[178:179], s[10:11]
	v_mul_f64 v[178:179], v[178:179], s[20:21]
	v_add_f64 v[128:129], v[128:129], v[144:145]
	v_mul_f64 v[144:145], v[124:125], s[10:11]
	v_mul_f64 v[124:125], v[124:125], s[24:25]
	v_add_f64 v[112:113], v[160:161], v[128:129]
	s_waitcnt vmcnt(0)
	v_add_f64 v[158:159], v[158:159], -v[0:1]
	buffer_load_dword v0, off, s[64:67], 0 offset:76 ; 4-byte Folded Reload
	buffer_load_dword v1, off, s[64:67], 0 offset:80 ; 4-byte Folded Reload
	s_waitcnt vmcnt(0)
	v_add_f64 v[114:115], v[114:115], -v[0:1]
	buffer_load_dword v0, off, s[64:67], 0 offset:248 ; 4-byte Folded Reload
	buffer_load_dword v1, off, s[64:67], 0 offset:252 ; 4-byte Folded Reload
	v_add_f64 v[114:115], v[12:13], v[114:115]
	s_waitcnt vmcnt(0)
	v_add_f64 v[124:125], v[124:125], -v[0:1]
	buffer_load_dword v0, off, s[64:67], 0 offset:60 ; 4-byte Folded Reload
	buffer_load_dword v1, off, s[64:67], 0 offset:64 ; 4-byte Folded Reload
	v_add_f64 v[114:115], v[124:125], v[114:115]
	v_mul_f64 v[124:125], v[233:234], s[24:25]
	s_waitcnt vmcnt(0)
	v_add_f64 v[116:117], v[0:1], v[116:117]
	buffer_load_dword v0, off, s[64:67], 0 offset:352 ; 4-byte Folded Reload
	buffer_load_dword v1, off, s[64:67], 0 offset:356 ; 4-byte Folded Reload
	v_add_f64 v[116:117], v[14:15], v[116:117]
	s_waitcnt vmcnt(0)
	v_add_f64 v[152:153], v[152:153], -v[0:1]
	buffer_load_dword v0, off, s[64:67], 0 offset:232 ; 4-byte Folded Reload
	buffer_load_dword v1, off, s[64:67], 0 offset:236 ; 4-byte Folded Reload
	v_add_f64 v[114:115], v[152:153], v[114:115]
	v_mul_f64 v[152:153], v[120:121], s[16:17]
	v_add_f64 v[114:115], v[158:159], v[114:115]
	v_mul_f64 v[158:159], v[150:151], s[20:21]
	v_add_f64 v[76:77], v[170:171], v[114:115]
	v_add_f64 v[114:115], v[140:141], v[122:123]
	v_add_f64 v[36:37], v[158:159], -v[162:163]
	v_add_f64 v[26:27], v[66:67], v[76:77]
	v_add_f64 v[66:67], v[184:185], v[204:205]
	s_waitcnt vmcnt(0)
	v_add_f64 v[126:127], v[0:1], v[126:127]
	buffer_load_dword v0, off, s[64:67], 0 offset:344 ; 4-byte Folded Reload
	buffer_load_dword v1, off, s[64:67], 0 offset:348 ; 4-byte Folded Reload
	v_add_f64 v[116:117], v[126:127], v[116:117]
	v_mul_f64 v[126:127], v[233:234], s[18:19]
	s_waitcnt vmcnt(0)
	v_add_f64 v[154:155], v[0:1], v[154:155]
	buffer_load_dword v0, off, s[64:67], 0 offset:440 ; 4-byte Folded Reload
	buffer_load_dword v1, off, s[64:67], 0 offset:444 ; 4-byte Folded Reload
	v_add_f64 v[116:117], v[154:155], v[116:117]
	v_mul_f64 v[154:155], v[120:121], s[4:5]
	v_mul_f64 v[120:121], v[120:121], s[10:11]
	v_add_f64 v[24:25], v[120:121], -v[142:143]
	s_waitcnt vmcnt(0)
	v_add_f64 v[180:181], v[0:1], v[180:181]
	buffer_load_dword v0, off, s[64:67], 0 offset:28 ; 4-byte Folded Reload
	buffer_load_dword v1, off, s[64:67], 0 offset:32 ; 4-byte Folded Reload
	v_add_f64 v[116:117], v[180:181], v[116:117]
	v_mul_f64 v[180:181], v[150:151], s[2:3]
	v_mul_f64 v[150:151], v[150:151], s[16:17]
	v_add_f64 v[72:73], v[200:201], v[116:117]
	v_add_f64 v[72:73], v[110:111], v[72:73]
	v_add_f64 v[110:111], v[150:151], -v[186:187]
	v_add_f64 v[72:73], v[114:115], v[72:73]
	v_add_f64 v[18:19], v[66:67], v[72:73]
	;; [unrolled: 1-line block ×3, first 2 shown]
	s_waitcnt vmcnt(0)
	v_add_f64 v[76:77], v[0:1], v[168:169]
	buffer_load_dword v0, off, s[64:67], 0 offset:12 ; 4-byte Folded Reload
	buffer_load_dword v1, off, s[64:67], 0 offset:16 ; 4-byte Folded Reload
	v_add_f64 v[14:15], v[14:15], v[76:77]
	s_waitcnt vmcnt(0)
	v_add_f64 v[20:21], v[138:139], -v[0:1]
	buffer_load_dword v0, off, s[64:67], 0 offset:44 ; 4-byte Folded Reload
	buffer_load_dword v1, off, s[64:67], 0 offset:48 ; 4-byte Folded Reload
	v_add_f64 v[20:21], v[12:13], v[20:21]
	s_waitcnt vmcnt(0)
	v_add_f64 v[22:23], v[136:137], -v[0:1]
	buffer_load_dword v0, off, s[64:67], 0 offset:184 ; 4-byte Folded Reload
	buffer_load_dword v1, off, s[64:67], 0 offset:188 ; 4-byte Folded Reload
	v_add_f64 v[12:13], v[12:13], v[22:23]
	s_waitcnt vmcnt(0)
	v_add_f64 v[114:115], v[144:145], -v[0:1]
	buffer_load_dword v0, off, s[64:67], 0 offset:176 ; 4-byte Folded Reload
	buffer_load_dword v1, off, s[64:67], 0 offset:180 ; 4-byte Folded Reload
	v_add_f64 v[12:13], v[114:115], v[12:13]
	s_waitcnt vmcnt(0)
	v_add_f64 v[116:117], v[0:1], v[166:167]
	buffer_load_dword v0, off, s[64:67], 0 offset:160 ; 4-byte Folded Reload
	buffer_load_dword v1, off, s[64:67], 0 offset:164 ; 4-byte Folded Reload
	v_add_f64 v[14:15], v[116:117], v[14:15]
	s_waitcnt vmcnt(0)
	v_add_f64 v[76:77], v[146:147], -v[0:1]
	buffer_load_dword v0, off, s[64:67], 0 offset:296 ; 4-byte Folded Reload
	buffer_load_dword v1, off, s[64:67], 0 offset:300 ; 4-byte Folded Reload
	v_add_f64 v[20:21], v[76:77], v[20:21]
	s_waitcnt vmcnt(0)
	v_add_f64 v[22:23], v[182:183], -v[0:1]
	buffer_load_dword v0, off, s[64:67], 0 offset:288 ; 4-byte Folded Reload
	buffer_load_dword v1, off, s[64:67], 0 offset:292 ; 4-byte Folded Reload
	v_add_f64 v[12:13], v[22:23], v[12:13]
	s_waitcnt vmcnt(0)
	v_add_f64 v[28:29], v[0:1], v[176:177]
	buffer_load_dword v0, off, s[64:67], 0 offset:280 ; 4-byte Folded Reload
	buffer_load_dword v1, off, s[64:67], 0 offset:284 ; 4-byte Folded Reload
	v_add_f64 v[14:15], v[28:29], v[14:15]
	s_waitcnt vmcnt(0)
	v_add_f64 v[30:31], v[172:173], -v[0:1]
	buffer_load_dword v0, off, s[64:67], 0 offset:400 ; 4-byte Folded Reload
	buffer_load_dword v1, off, s[64:67], 0 offset:404 ; 4-byte Folded Reload
	v_add_f64 v[20:21], v[30:31], v[20:21]
	s_waitcnt vmcnt(0)
	v_add_f64 v[32:33], v[178:179], -v[0:1]
	buffer_load_dword v0, off, s[64:67], 0 offset:384 ; 4-byte Folded Reload
	buffer_load_dword v1, off, s[64:67], 0 offset:388 ; 4-byte Folded Reload
	v_add_f64 v[12:13], v[32:33], v[12:13]
	v_add_f64 v[32:33], v[243:244], v[202:203]
	s_waitcnt vmcnt(0)
	v_add_f64 v[34:35], v[0:1], v[192:193]
	buffer_load_dword v0, off, s[64:67], 0 offset:376 ; 4-byte Folded Reload
	buffer_load_dword v1, off, s[64:67], 0 offset:380 ; 4-byte Folded Reload
	v_add_f64 v[14:15], v[34:35], v[14:15]
	s_waitcnt vmcnt(0)
	v_add_f64 v[28:29], v[190:191], -v[0:1]
	buffer_load_dword v0, off, s[64:67], 0 offset:496 ; 4-byte Folded Reload
	buffer_load_dword v1, off, s[64:67], 0 offset:500 ; 4-byte Folded Reload
	v_add_f64 v[20:21], v[28:29], v[20:21]
	v_add_f64 v[28:29], v[126:127], -v[247:248]
	s_waitcnt vmcnt(0)
	v_add_f64 v[22:23], v[198:199], -v[0:1]
	buffer_load_dword v0, off, s[64:67], 0 offset:472 ; 4-byte Folded Reload
	buffer_load_dword v1, off, s[64:67], 0 offset:476 ; 4-byte Folded Reload
	v_add_f64 v[12:13], v[22:23], v[12:13]
	v_add_f64 v[22:23], v[154:155], -v[134:135]
	v_add_f64 v[12:13], v[28:29], v[12:13]
	v_add_f64 v[28:29], v[180:181], -v[174:175]
	v_add_f64 v[12:13], v[22:23], v[12:13]
	s_waitcnt vmcnt(0)
	v_add_f64 v[30:31], v[0:1], v[196:197]
	buffer_load_dword v0, off, s[64:67], 0 offset:464 ; 4-byte Folded Reload
	buffer_load_dword v1, off, s[64:67], 0 offset:468 ; 4-byte Folded Reload
	v_add_f64 v[14:15], v[30:31], v[14:15]
	v_add_f64 v[30:31], v[124:125], -v[241:242]
	v_add_f64 v[14:15], v[32:33], v[14:15]
	v_add_f64 v[32:33], v[152:153], -v[130:131]
	s_waitcnt vmcnt(0)
	v_add_f64 v[34:35], v[194:195], -v[0:1]
	buffer_load_dword v194, off, s[64:67], 0 offset:8 ; 4-byte Folded Reload
	buffer_load_dword v0, off, s[64:67], 0 offset:124 ; 4-byte Folded Reload
	v_add_f64 v[20:21], v[34:35], v[20:21]
	v_add_f64 v[34:35], v[132:133], v[208:209]
	;; [unrolled: 1-line block ×16, first 2 shown]
	s_waitcnt vmcnt(0)
	v_lshlrev_b32_e32 v0, 4, v0
	ds_write_b128 v0, v[24:27]
	ds_write_b128 v0, v[20:23] offset:16
	ds_write_b128 v0, v[16:19] offset:32
	;; [unrolled: 1-line block ×16, first 2 shown]
.LBB0_7:
	s_or_b64 exec, exec, s[26:27]
	s_waitcnt vmcnt(0) lgkmcnt(0)
	s_barrier
	ds_read_b128 v[60:63], v255
	ds_read_b128 v[112:115], v255 offset:2448
	ds_read_b128 v[108:111], v255 offset:4896
	ds_read_b128 v[76:79], v255 offset:7344
	ds_read_b128 v[72:75], v255 offset:9792
	ds_read_b128 v[68:71], v255 offset:12240
	ds_read_b128 v[64:67], v255 offset:14688
	v_cmp_gt_u16_e64 s[2:3], 34, v194
	s_and_saveexec_b64 s[4:5], s[2:3]
	s_cbranch_execz .LBB0_9
; %bb.8:
	ds_read_b128 v[88:91], v255 offset:1904
	ds_read_b128 v[100:103], v255 offset:4352
	;; [unrolled: 1-line block ×7, first 2 shown]
.LBB0_9:
	s_or_b64 exec, exec, s[4:5]
	s_movk_i32 s4, 0xf1
	v_mul_lo_u16_sdwa v0, v194, s4 dst_sel:DWORD dst_unused:UNUSED_PAD src0_sel:BYTE_0 src1_sel:DWORD
	v_lshrrev_b16_e32 v20, 12, v0
	v_mul_lo_u16_e32 v0, 17, v20
	v_sub_u16_e32 v0, v194, v0
	v_and_b32_e32 v21, 0xff, v0
	v_mul_u32_u24_e32 v0, 6, v21
	v_lshlrev_b32_e32 v0, 4, v0
	global_load_dwordx4 v[154:157], v0, s[8:9] offset:16
	global_load_dwordx4 v[158:161], v0, s[8:9]
	global_load_dwordx4 v[36:39], v0, s[8:9] offset:48
	global_load_dwordx4 v[40:43], v0, s[8:9] offset:32
	;; [unrolled: 1-line block ×4, first 2 shown]
	v_add_u16_e32 v0, 0x77, v194
	v_mul_lo_u16_sdwa v1, v0, s4 dst_sel:DWORD dst_unused:UNUSED_PAD src0_sel:BYTE_0 src1_sel:DWORD
	v_lshrrev_b16_e32 v1, 12, v1
	buffer_store_dword v1, off, s[64:67], 0 offset:108 ; 4-byte Folded Spill
	v_mul_lo_u16_e32 v1, 17, v1
	v_sub_u16_e32 v0, v0, v1
	v_and_b32_e32 v0, 0xff, v0
	buffer_store_dword v0, off, s[64:67], 0 offset:116 ; 4-byte Folded Spill
	v_mul_u32_u24_e32 v0, 6, v0
	v_lshlrev_b32_e32 v0, 4, v0
	global_load_dwordx4 v[56:59], v0, s[8:9]
	global_load_dwordx4 v[24:27], v0, s[8:9] offset:16
	global_load_dwordx4 v[52:55], v0, s[8:9] offset:32
	;; [unrolled: 1-line block ×5, first 2 shown]
	s_load_dwordx4 s[4:7], s[6:7], 0x0
	s_mov_b32 s16, 0x37e14327
	s_mov_b32 s10, 0x36b3c0b5
	;; [unrolled: 1-line block ×20, first 2 shown]
	v_mul_u32_u24_e32 v0, 0x77, v20
	v_add_lshl_u32 v188, v0, v21, 4
	s_waitcnt vmcnt(13) lgkmcnt(0)
	v_mul_f64 v[16:17], v[110:111], v[156:157]
	s_waitcnt vmcnt(12)
	v_mul_f64 v[12:13], v[114:115], v[160:161]
	v_mul_f64 v[14:15], v[112:113], v[160:161]
	;; [unrolled: 1-line block ×3, first 2 shown]
	s_waitcnt vmcnt(9)
	v_mul_f64 v[126:127], v[66:67], v[164:165]
	s_waitcnt vmcnt(8)
	v_mul_f64 v[122:123], v[70:71], v[168:169]
	v_mul_f64 v[124:125], v[68:69], v[168:169]
	;; [unrolled: 1-line block ×3, first 2 shown]
	v_fma_f64 v[16:17], v[108:109], v[154:155], -v[16:17]
	v_fma_f64 v[12:13], v[112:113], v[158:159], -v[12:13]
	buffer_store_dword v158, off, s[64:67], 0 offset:28 ; 4-byte Folded Spill
	s_nop 0
	buffer_store_dword v159, off, s[64:67], 0 offset:32 ; 4-byte Folded Spill
	buffer_store_dword v160, off, s[64:67], 0 offset:36 ; 4-byte Folded Spill
	;; [unrolled: 1-line block ×4, first 2 shown]
	s_nop 0
	buffer_store_dword v155, off, s[64:67], 0 offset:16 ; 4-byte Folded Spill
	buffer_store_dword v156, off, s[64:67], 0 offset:20 ; 4-byte Folded Spill
	;; [unrolled: 1-line block ×3, first 2 shown]
	v_fma_f64 v[64:65], v[64:65], v[162:163], -v[126:127]
	v_fma_f64 v[68:69], v[68:69], v[166:167], -v[122:123]
	buffer_store_dword v166, off, s[64:67], 0 offset:60 ; 4-byte Folded Spill
	s_nop 0
	buffer_store_dword v167, off, s[64:67], 0 offset:64 ; 4-byte Folded Spill
	buffer_store_dword v168, off, s[64:67], 0 offset:68 ; 4-byte Folded Spill
	;; [unrolled: 1-line block ×4, first 2 shown]
	s_nop 0
	buffer_store_dword v163, off, s[64:67], 0 offset:48 ; 4-byte Folded Spill
	buffer_store_dword v164, off, s[64:67], 0 offset:52 ; 4-byte Folded Spill
	;; [unrolled: 1-line block ×3, first 2 shown]
	s_waitcnt vmcnt(20)
	v_mul_f64 v[134:135], v[106:107], v[26:27]
	s_waitcnt vmcnt(18)
	v_mul_f64 v[142:143], v[94:95], v[46:47]
	;; [unrolled: 2-line block ×3, first 2 shown]
	v_mul_f64 v[136:137], v[104:105], v[26:27]
	v_mul_f64 v[144:145], v[92:93], v[46:47]
	;; [unrolled: 1-line block ×5, first 2 shown]
	v_fma_f64 v[104:105], v[104:105], v[24:25], -v[134:135]
	buffer_store_dword v24, off, s[64:67], 0 offset:128 ; 4-byte Folded Spill
	s_nop 0
	buffer_store_dword v25, off, s[64:67], 0 offset:132 ; 4-byte Folded Spill
	buffer_store_dword v26, off, s[64:67], 0 offset:136 ; 4-byte Folded Spill
	buffer_store_dword v27, off, s[64:67], 0 offset:140 ; 4-byte Folded Spill
	v_fma_f64 v[92:93], v[92:93], v[44:45], -v[142:143]
	buffer_store_dword v44, off, s[64:67], 0 offset:472 ; 4-byte Folded Spill
	s_nop 0
	buffer_store_dword v45, off, s[64:67], 0 offset:476 ; 4-byte Folded Spill
	buffer_store_dword v46, off, s[64:67], 0 offset:480 ; 4-byte Folded Spill
	buffer_store_dword v47, off, s[64:67], 0 offset:484 ; 4-byte Folded Spill
	;; [unrolled: 6-line block ×3, first 2 shown]
	v_mul_f64 v[118:119], v[74:75], v[38:39]
	v_mul_f64 v[120:121], v[72:73], v[38:39]
	v_fma_f64 v[22:23], v[76:77], v[40:41], -v[22:23]
	v_fma_f64 v[76:77], v[78:79], v[40:41], v[116:117]
	v_add_f64 v[78:79], v[12:13], v[64:65]
	v_add_f64 v[12:13], v[12:13], -v[64:65]
	v_add_f64 v[64:65], v[16:17], v[68:69]
	v_add_f64 v[16:17], v[16:17], -v[68:69]
	v_fma_f64 v[72:73], v[72:73], v[36:37], -v[118:119]
	v_fma_f64 v[74:75], v[74:75], v[36:37], v[120:121]
	s_waitcnt vmcnt(28)
	v_mul_f64 v[150:151], v[82:83], v[30:31]
	v_mul_f64 v[152:153], v[80:81], v[30:31]
	v_mul_f64 v[130:131], v[102:103], v[58:59]
	v_mul_f64 v[132:133], v[100:101], v[58:59]
	v_mul_f64 v[138:139], v[98:99], v[54:55]
	v_mul_f64 v[140:141], v[96:97], v[54:55]
	v_add_f64 v[68:69], v[22:23], v[72:73]
	v_add_f64 v[22:23], v[72:73], -v[22:23]
	v_add_f64 v[72:73], v[74:75], -v[76:77]
	v_fma_f64 v[100:101], v[100:101], v[56:57], -v[130:131]
	v_fma_f64 v[102:103], v[102:103], v[56:57], v[132:133]
	v_fma_f64 v[96:97], v[96:97], v[52:53], -v[138:139]
	v_fma_f64 v[98:99], v[98:99], v[52:53], v[140:141]
	v_add_f64 v[118:119], v[22:23], -v[16:17]
	v_mul_f64 v[118:119], v[118:119], s[20:21]
	v_fma_f64 v[14:15], v[114:115], v[158:159], v[14:15]
	v_fma_f64 v[18:19], v[110:111], v[154:155], v[18:19]
	v_add_f64 v[114:115], v[68:69], -v[64:65]
	v_fma_f64 v[70:71], v[70:71], v[166:167], v[124:125]
	v_fma_f64 v[66:67], v[66:67], v[162:163], v[128:129]
	v_add_f64 v[84:85], v[14:15], v[66:67]
	v_add_f64 v[14:15], v[14:15], -v[66:67]
	v_add_f64 v[66:67], v[18:19], v[70:71]
	v_add_f64 v[18:19], v[18:19], -v[70:71]
	v_add_f64 v[70:71], v[76:77], v[74:75]
	v_add_f64 v[74:75], v[64:65], v[78:79]
	v_fma_f64 v[110:111], v[86:87], v[32:33], v[148:149]
	v_add_f64 v[86:87], v[64:65], -v[78:79]
	v_add_f64 v[78:79], v[78:79], -v[68:69]
	v_add_f64 v[64:65], v[22:23], v[16:17]
	v_add_f64 v[16:17], v[16:17], -v[12:13]
	v_add_f64 v[22:23], v[12:13], -v[22:23]
	v_add_f64 v[76:77], v[66:67], v[84:85]
	v_add_f64 v[68:69], v[68:69], v[74:75]
	v_add_f64 v[112:113], v[66:67], -v[84:85]
	v_add_f64 v[84:85], v[84:85], -v[70:71]
	v_mul_f64 v[74:75], v[78:79], s[16:17]
	v_add_f64 v[12:13], v[64:65], v[12:13]
	v_mul_f64 v[78:79], v[114:115], s[10:11]
	v_add_f64 v[116:117], v[70:71], -v[66:67]
	v_add_f64 v[66:67], v[72:73], v[18:19]
	v_add_f64 v[64:65], v[60:61], v[68:69]
	v_mul_f64 v[60:61], v[16:17], s[18:19]
	v_fma_f64 v[16:17], v[16:17], s[18:19], -v[118:119]
	v_fma_f64 v[114:115], v[114:115], s[10:11], v[74:75]
	v_fma_f64 v[74:75], v[86:87], s[26:27], -v[74:75]
	v_fma_f64 v[78:79], v[86:87], s[24:25], -v[78:79]
	v_fma_f64 v[86:87], v[22:23], s[30:31], v[118:119]
	v_add_f64 v[120:121], v[72:73], -v[18:19]
	v_add_f64 v[18:19], v[18:19], -v[14:15]
	v_fma_f64 v[22:23], v[22:23], s[34:35], -v[60:61]
	v_add_f64 v[70:71], v[70:71], v[76:77]
	v_add_f64 v[72:73], v[14:15], -v[72:73]
	v_add_f64 v[14:15], v[66:67], v[14:15]
	v_mul_f64 v[76:77], v[84:85], s[16:17]
	v_fma_f64 v[122:123], v[12:13], s[28:29], v[86:87]
	v_mul_f64 v[84:85], v[116:117], s[10:11]
	v_mul_f64 v[120:121], v[120:121], s[20:21]
	v_fma_f64 v[22:23], v[12:13], s[28:29], v[22:23]
	v_fma_f64 v[12:13], v[12:13], s[28:29], v[16:17]
	v_fma_f64 v[16:17], v[80:81], v[28:29], -v[150:151]
	buffer_store_dword v28, off, s[64:67], 0 offset:144 ; 4-byte Folded Spill
	s_nop 0
	buffer_store_dword v29, off, s[64:67], 0 offset:148 ; 4-byte Folded Spill
	buffer_store_dword v30, off, s[64:67], 0 offset:152 ; 4-byte Folded Spill
	;; [unrolled: 1-line block ×3, first 2 shown]
	v_add_f64 v[66:67], v[62:63], v[70:71]
	v_mul_f64 v[62:63], v[18:19], s[18:19]
	v_fma_f64 v[116:117], v[116:117], s[10:11], v[76:77]
	v_fma_f64 v[84:85], v[112:113], s[24:25], -v[84:85]
	v_fma_f64 v[68:69], v[68:69], s[22:23], v[64:65]
	v_fma_f64 v[76:77], v[112:113], s[26:27], -v[76:77]
	;; [unrolled: 2-line block ×4, first 2 shown]
	v_fma_f64 v[106:107], v[106:107], v[24:25], v[136:137]
	v_fma_f64 v[94:95], v[94:95], v[44:45], v[144:145]
	v_add_f64 v[62:63], v[114:115], v[68:69]
	v_add_f64 v[118:119], v[74:75], v[68:69]
	v_fma_f64 v[112:113], v[14:15], s[28:29], v[112:113]
	v_add_f64 v[114:115], v[116:117], v[70:71]
	v_add_f64 v[116:117], v[78:79], v[68:69]
	v_add_f64 v[84:85], v[84:85], v[70:71]
	v_add_f64 v[120:121], v[76:77], v[70:71]
	v_fma_f64 v[60:61], v[14:15], s[28:29], v[60:61]
	v_fma_f64 v[14:15], v[14:15], s[28:29], v[18:19]
	v_add_f64 v[68:69], v[112:113], v[62:63]
	v_add_f64 v[112:113], v[62:63], -v[112:113]
	v_add_f64 v[62:63], v[104:105], -v[108:109]
	;; [unrolled: 1-line block ×3, first 2 shown]
	v_add_f64 v[78:79], v[12:13], v[84:85]
	v_add_f64 v[74:75], v[120:121], -v[22:23]
	v_add_f64 v[72:73], v[60:61], v[118:119]
	v_add_f64 v[76:77], v[116:117], -v[14:15]
	v_add_f64 v[80:81], v[14:15], v[116:117]
	v_add_f64 v[86:87], v[22:23], v[120:121]
	;; [unrolled: 1-line block ×4, first 2 shown]
	v_add_f64 v[94:95], v[94:95], -v[98:99]
	v_add_f64 v[114:115], v[122:123], v[114:115]
	s_waitcnt vmcnt(0)
	s_barrier
	v_fma_f64 v[18:19], v[82:83], v[28:29], v[152:153]
	v_add_f64 v[82:83], v[84:85], -v[12:13]
	v_add_f64 v[84:85], v[118:119], -v[60:61]
	v_add_f64 v[12:13], v[100:101], v[16:17]
	v_add_f64 v[60:61], v[106:107], v[110:111]
	v_add_f64 v[16:17], v[100:101], -v[16:17]
	v_add_f64 v[100:101], v[106:107], -v[110:111]
	ds_write_b128 v188, v[64:67]
	ds_write_b128 v188, v[68:71] offset:272
	ds_write_b128 v188, v[72:75] offset:544
	;; [unrolled: 1-line block ×6, first 2 shown]
	v_add_f64 v[14:15], v[102:103], v[18:19]
	v_add_f64 v[18:19], v[102:103], -v[18:19]
	v_add_f64 v[102:103], v[96:97], v[92:93]
	v_add_f64 v[92:93], v[92:93], -v[96:97]
	;; [unrolled: 2-line block ×3, first 2 shown]
	v_add_f64 v[110:111], v[104:105], -v[60:61]
	v_add_f64 v[116:117], v[94:95], v[100:101]
	v_add_f64 v[98:99], v[60:61], v[14:15]
	v_add_f64 v[108:109], v[60:61], -v[14:15]
	v_add_f64 v[12:13], v[12:13], -v[102:103]
	;; [unrolled: 1-line block ×4, first 2 shown]
	v_add_f64 v[60:61], v[92:93], v[62:63]
	v_add_f64 v[118:119], v[92:93], -v[62:63]
	v_add_f64 v[120:121], v[94:95], -v[100:101]
	v_add_f64 v[96:97], v[102:103], v[96:97]
	v_add_f64 v[98:99], v[104:105], v[98:99]
	v_add_f64 v[102:103], v[62:63], -v[16:17]
	v_add_f64 v[100:101], v[100:101], -v[18:19]
	;; [unrolled: 1-line block ×4, first 2 shown]
	v_add_f64 v[104:105], v[60:61], v[16:17]
	v_add_f64 v[116:117], v[116:117], v[18:19]
	;; [unrolled: 1-line block ×4, first 2 shown]
	v_mul_f64 v[12:13], v[12:13], s[16:17]
	v_mul_f64 v[14:15], v[14:15], s[16:17]
	;; [unrolled: 1-line block ×8, first 2 shown]
	v_fma_f64 v[96:97], v[96:97], s[22:23], v[60:61]
	v_fma_f64 v[98:99], v[98:99], s[22:23], v[62:63]
	;; [unrolled: 1-line block ×4, first 2 shown]
	v_fma_f64 v[16:17], v[106:107], s[24:25], -v[16:17]
	v_fma_f64 v[18:19], v[108:109], s[24:25], -v[18:19]
	;; [unrolled: 1-line block ×4, first 2 shown]
	v_fma_f64 v[106:107], v[92:93], s[30:31], v[88:89]
	v_fma_f64 v[108:109], v[94:95], s[30:31], v[90:91]
	v_fma_f64 v[94:95], v[94:95], s[34:35], -v[120:121]
	v_fma_f64 v[92:93], v[92:93], s[34:35], -v[118:119]
	v_fma_f64 v[90:91], v[100:101], s[18:19], -v[90:91]
	v_fma_f64 v[88:89], v[102:103], s[18:19], -v[88:89]
	v_add_f64 v[100:101], v[16:17], v[96:97]
	v_add_f64 v[102:103], v[18:19], v[98:99]
	v_add_f64 v[118:119], v[12:13], v[96:97]
	v_add_f64 v[120:121], v[14:15], v[98:99]
	v_fma_f64 v[122:123], v[116:117], s[28:29], v[94:95]
	v_fma_f64 v[124:125], v[104:105], s[28:29], v[92:93]
	;; [unrolled: 1-line block ×4, first 2 shown]
	v_add_f64 v[12:13], v[22:23], v[96:97]
	v_add_f64 v[16:17], v[110:111], v[98:99]
	v_fma_f64 v[18:19], v[104:105], s[28:29], v[106:107]
	v_fma_f64 v[14:15], v[116:117], s[28:29], v[108:109]
	v_add_f64 v[92:93], v[122:123], v[118:119]
	v_add_f64 v[94:95], v[120:121], -v[124:125]
	v_add_f64 v[96:97], v[100:101], -v[90:91]
	v_add_f64 v[98:99], v[88:89], v[102:103]
	v_add_f64 v[32:33], v[90:91], v[100:101]
	v_add_f64 v[34:35], v[102:103], -v[88:89]
	v_add_f64 v[104:105], v[118:119], -v[122:123]
	v_add_f64 v[106:107], v[124:125], v[120:121]
	v_add_f64 v[108:109], v[12:13], -v[14:15]
	v_add_f64 v[110:111], v[18:19], v[16:17]
	s_and_saveexec_b64 s[10:11], s[2:3]
	s_cbranch_execz .LBB0_11
; %bb.10:
	buffer_load_dword v0, off, s[64:67], 0 offset:108 ; 4-byte Folded Reload
	buffer_load_dword v1, off, s[64:67], 0 offset:116 ; 4-byte Folded Reload
	v_add_f64 v[16:17], v[16:17], -v[18:19]
	v_add_f64 v[14:15], v[14:15], v[12:13]
	s_waitcnt vmcnt(1)
	v_mul_u32_u24_e32 v0, 0x77, v0
	s_waitcnt vmcnt(0)
	v_add_lshl_u32 v0, v0, v1, 4
	ds_write_b128 v0, v[60:63]
	ds_write_b128 v0, v[92:95] offset:544
	ds_write_b128 v0, v[96:99] offset:816
	;; [unrolled: 1-line block ×6, first 2 shown]
.LBB0_11:
	s_or_b64 exec, exec, s[10:11]
	v_lshlrev_b32_e32 v0, 7, v194
	s_waitcnt lgkmcnt(0)
	s_barrier
	global_load_dwordx4 v[78:81], v0, s[8:9] offset:1632
	global_load_dwordx4 v[74:77], v0, s[8:9] offset:1648
	;; [unrolled: 1-line block ×8, first 2 shown]
	ds_read_b128 v[12:15], v255
	ds_read_b128 v[16:19], v255 offset:1904
	ds_read_b128 v[20:23], v255 offset:3808
	;; [unrolled: 1-line block ×8, first 2 shown]
	s_mov_b32 s26, 0xa2cf5039
	s_mov_b32 s17, 0x3fe491b7
	;; [unrolled: 1-line block ×16, first 2 shown]
	s_waitcnt vmcnt(7) lgkmcnt(7)
	v_mul_f64 v[136:137], v[18:19], v[80:81]
	v_mul_f64 v[138:139], v[16:17], v[80:81]
	s_waitcnt vmcnt(6) lgkmcnt(6)
	v_mul_f64 v[140:141], v[22:23], v[76:77]
	s_waitcnt vmcnt(4) lgkmcnt(4)
	v_mul_f64 v[148:149], v[118:119], v[68:69]
	v_mul_f64 v[150:151], v[116:117], v[68:69]
	;; [unrolled: 1-line block ×3, first 2 shown]
	s_waitcnt vmcnt(1) lgkmcnt(1)
	v_mul_f64 v[160:161], v[130:131], v[26:27]
	s_waitcnt vmcnt(0) lgkmcnt(0)
	v_mul_f64 v[164:165], v[134:135], v[30:31]
	v_mul_f64 v[166:167], v[132:133], v[30:31]
	v_fma_f64 v[16:17], v[16:17], v[78:79], -v[136:137]
	v_mul_f64 v[162:163], v[128:129], v[26:27]
	v_fma_f64 v[136:137], v[116:117], v[66:67], -v[148:149]
	v_fma_f64 v[18:19], v[18:19], v[78:79], v[138:139]
	v_fma_f64 v[138:139], v[118:119], v[66:67], v[150:151]
	v_fma_f64 v[128:129], v[128:129], v[24:25], -v[160:161]
	v_fma_f64 v[116:117], v[132:133], v[28:29], -v[164:165]
	buffer_store_dword v28, off, s[64:67], 0 offset:92 ; 4-byte Folded Spill
	s_nop 0
	buffer_store_dword v29, off, s[64:67], 0 offset:96 ; 4-byte Folded Spill
	buffer_store_dword v30, off, s[64:67], 0 offset:100 ; 4-byte Folded Spill
	;; [unrolled: 1-line block ×4, first 2 shown]
	s_nop 0
	buffer_store_dword v25, off, s[64:67], 0 offset:80 ; 4-byte Folded Spill
	buffer_store_dword v26, off, s[64:67], 0 offset:84 ; 4-byte Folded Spill
	;; [unrolled: 1-line block ×3, first 2 shown]
	v_mul_f64 v[144:145], v[114:115], v[72:73]
	v_mul_f64 v[146:147], v[112:113], v[72:73]
	;; [unrolled: 1-line block ×6, first 2 shown]
	v_fma_f64 v[20:21], v[20:21], v[74:75], -v[140:141]
	v_fma_f64 v[22:23], v[22:23], v[74:75], v[142:143]
	v_add_f64 v[140:141], v[16:17], v[116:117]
	v_fma_f64 v[112:113], v[112:113], v[70:71], -v[144:145]
	v_fma_f64 v[114:115], v[114:115], v[70:71], v[146:147]
	v_fma_f64 v[132:133], v[120:121], v[86:87], -v[152:153]
	v_fma_f64 v[124:125], v[124:125], v[82:83], -v[156:157]
	v_fma_f64 v[126:127], v[126:127], v[82:83], v[158:159]
	v_add_f64 v[120:121], v[20:21], v[128:129]
	v_add_f64 v[16:17], v[16:17], -v[116:117]
	v_fma_f64 v[148:149], v[140:141], s[26:27], v[12:13]
	v_add_f64 v[20:21], v[20:21], -v[128:129]
	v_add_f64 v[116:117], v[136:137], -v[132:133]
	v_add_f64 v[144:145], v[112:113], v[124:125]
	v_add_f64 v[146:147], v[114:115], v[126:127]
	v_add_f64 v[112:113], v[112:113], -v[124:125]
	v_add_f64 v[114:115], v[114:115], -v[126:127]
	v_mul_f64 v[128:129], v[16:17], s[16:17]
	v_fma_f64 v[148:149], v[120:121], s[22:23], v[148:149]
	v_add_f64 v[164:165], v[120:121], v[140:141]
	v_mul_f64 v[168:169], v[116:117], s[18:19]
	v_fma_f64 v[172:173], v[120:121], s[26:27], v[12:13]
	v_add_f64 v[156:157], v[116:117], v[16:17]
	v_add_f64 v[160:161], v[12:13], v[144:145]
	v_fma_f64 v[128:129], v[20:21], s[18:19], v[128:129]
	v_fma_f64 v[148:149], v[144:145], -0.5, v[148:149]
	v_add_f64 v[156:157], v[156:157], -v[20:21]
	v_fma_f64 v[128:129], v[112:113], s[8:9], v[128:129]
	v_fma_f64 v[118:119], v[134:135], v[28:29], v[166:167]
	;; [unrolled: 1-line block ×4, first 2 shown]
	v_add_f64 v[162:163], v[14:15], v[146:147]
	v_add_f64 v[142:143], v[18:19], v[118:119]
	v_add_f64 v[18:19], v[18:19], -v[118:119]
	v_add_f64 v[122:123], v[22:23], v[130:131]
	v_add_f64 v[22:23], v[22:23], -v[130:131]
	v_add_f64 v[118:119], v[136:137], v[132:133]
	v_add_f64 v[124:125], v[138:139], v[134:135]
	v_add_f64 v[126:127], v[138:139], -v[134:135]
	v_fma_f64 v[150:151], v[142:143], s[26:27], v[14:15]
	v_mul_f64 v[130:131], v[18:19], s[16:17]
	s_mov_b32 s17, 0xbfe491b7
	v_fma_f64 v[174:175], v[122:123], s[26:27], v[14:15]
	v_fma_f64 v[152:153], v[118:119], s[26:27], v[12:13]
	;; [unrolled: 1-line block ×3, first 2 shown]
	v_mul_f64 v[170:171], v[126:127], s[18:19]
	v_mul_f64 v[176:177], v[116:117], s[16:17]
	;; [unrolled: 1-line block ×3, first 2 shown]
	v_fma_f64 v[130:131], v[22:23], s[18:19], v[130:131]
	v_fma_f64 v[150:151], v[122:123], s[22:23], v[150:151]
	v_add_f64 v[158:159], v[126:127], v[18:19]
	v_add_f64 v[166:167], v[122:123], v[142:143]
	v_fma_f64 v[152:153], v[140:141], s[22:23], v[152:153]
	v_fma_f64 v[154:155], v[142:143], s[22:23], v[154:155]
	v_add_f64 v[180:181], v[118:119], v[164:165]
	v_fma_f64 v[168:169], v[20:21], s[16:17], -v[168:169]
	v_fma_f64 v[130:131], v[114:115], s[8:9], v[130:131]
	v_fma_f64 v[170:171], v[22:23], s[16:17], -v[170:171]
	v_fma_f64 v[172:173], v[118:119], s[22:23], v[172:173]
	v_fma_f64 v[176:177], v[16:17], s[18:19], v[176:177]
	;; [unrolled: 1-line block ×3, first 2 shown]
	v_fma_f64 v[150:151], v[146:147], -0.5, v[150:151]
	v_fma_f64 v[118:119], v[118:119], s[20:21], v[148:149]
	v_add_f64 v[164:165], v[144:145], v[164:165]
	v_fma_f64 v[126:127], v[126:127], s[10:11], v[130:131]
	v_fma_f64 v[130:131], v[124:125], s[22:23], v[174:175]
	v_add_f64 v[182:183], v[146:147], v[166:167]
	v_fma_f64 v[152:153], v[144:145], -0.5, v[152:153]
	v_fma_f64 v[154:155], v[146:147], -0.5, v[154:155]
	v_fma_f64 v[176:177], v[112:113], s[24:25], v[176:177]
	v_fma_f64 v[178:179], v[114:115], s[24:25], v[178:179]
	;; [unrolled: 1-line block ×4, first 2 shown]
	v_add_f64 v[116:117], v[126:127], v[118:119]
	v_fma_f64 v[112:113], v[112:113], s[8:9], v[168:169]
	v_fma_f64 v[114:115], v[114:115], s[8:9], v[170:171]
	v_fma_f64 v[144:145], v[144:145], -0.5, v[172:173]
	v_fma_f64 v[130:131], v[146:147], -0.5, v[130:131]
	v_add_f64 v[124:125], v[124:125], v[166:167]
	v_add_f64 v[158:159], v[158:159], -v[22:23]
	v_fma_f64 v[120:121], v[120:121], s[20:21], v[152:153]
	v_fma_f64 v[122:123], v[122:123], s[20:21], v[154:155]
	;; [unrolled: 1-line block ×4, first 2 shown]
	v_add_f64 v[118:119], v[128:129], -v[148:149]
	v_fma_f64 v[128:129], v[126:127], -2.0, v[116:117]
	v_add_f64 v[126:127], v[136:137], v[164:165]
	v_add_f64 v[136:137], v[138:139], v[182:183]
	v_fma_f64 v[138:139], v[180:181], -0.5, v[160:161]
	v_fma_f64 v[16:17], v[16:17], s[10:11], v[112:113]
	v_fma_f64 v[18:19], v[18:19], s[10:11], v[114:115]
	;; [unrolled: 1-line block ×4, first 2 shown]
	v_fma_f64 v[130:131], v[124:125], -0.5, v[162:163]
	v_add_f64 v[120:121], v[22:23], v[120:121]
	v_add_f64 v[122:123], v[122:123], -v[20:21]
	v_add_f64 v[140:141], v[132:133], v[126:127]
	v_add_f64 v[136:137], v[134:135], v[136:137]
	v_mul_f64 v[146:147], v[156:157], s[8:9]
	v_mul_f64 v[142:143], v[158:159], s[8:9]
	v_fma_f64 v[124:125], v[158:159], s[8:9], v[138:139]
	v_add_f64 v[132:133], v[18:19], v[112:113]
	v_add_f64 v[134:135], v[114:115], -v[16:17]
	v_fma_f64 v[126:127], v[156:157], s[24:25], v[130:131]
	v_add_f64 v[112:113], v[12:13], v[140:141]
	v_add_f64 v[114:115], v[14:15], v[136:137]
	v_fma_f64 v[130:131], v[148:149], 2.0, v[118:119]
	v_fma_f64 v[144:145], v[22:23], -2.0, v[120:121]
	v_fma_f64 v[136:137], v[142:143], -2.0, v[124:125]
	;; [unrolled: 1-line block ×3, first 2 shown]
	v_fma_f64 v[142:143], v[16:17], 2.0, v[134:135]
	v_fma_f64 v[138:139], v[146:147], 2.0, v[126:127]
	;; [unrolled: 1-line block ×3, first 2 shown]
	ds_write_b128 v255, v[112:115]
	ds_write_b128 v255, v[116:119] offset:1904
	ds_write_b128 v255, v[120:123] offset:3808
	;; [unrolled: 1-line block ×8, first 2 shown]
	s_waitcnt vmcnt(0) lgkmcnt(0)
	s_barrier
	s_and_saveexec_b64 s[8:9], s[0:1]
	s_cbranch_execz .LBB0_13
; %bb.12:
	v_add_co_u32_e32 v12, vcc, s12, v255
	v_mov_b32_e32 v0, s13
	v_addc_co_u32_e32 v13, vcc, 0, v0, vcc
	v_add_co_u32_e32 v22, vcc, 0x42f0, v12
	v_addc_co_u32_e32 v23, vcc, 0, v13, vcc
	v_add_co_u32_e32 v18, vcc, 0x4000, v12
	v_addc_co_u32_e32 v19, vcc, 0, v13, vcc
	global_load_dwordx4 v[18:21], v[18:19], off offset:752
	ds_read_b128 v[14:17], v255
	s_movk_i32 s10, 0x5000
	s_waitcnt vmcnt(0) lgkmcnt(0)
	v_mul_f64 v[148:149], v[16:17], v[20:21]
	v_fma_f64 v[148:149], v[14:15], v[18:19], -v[148:149]
	v_mul_f64 v[14:15], v[14:15], v[20:21]
	v_fma_f64 v[150:151], v[16:17], v[18:19], v[14:15]
	global_load_dwordx4 v[18:21], v[22:23], off offset:1008
	ds_read_b128 v[14:17], v255 offset:1008
	ds_write_b128 v255, v[148:151]
	s_waitcnt vmcnt(0) lgkmcnt(1)
	v_mul_f64 v[148:149], v[16:17], v[20:21]
	v_fma_f64 v[148:149], v[14:15], v[18:19], -v[148:149]
	v_mul_f64 v[14:15], v[14:15], v[20:21]
	v_fma_f64 v[150:151], v[16:17], v[18:19], v[14:15]
	global_load_dwordx4 v[18:21], v[22:23], off offset:2016
	ds_read_b128 v[14:17], v255 offset:2016
	ds_write_b128 v255, v[148:151] offset:1008
	s_waitcnt vmcnt(0) lgkmcnt(1)
	v_mul_f64 v[148:149], v[16:17], v[20:21]
	v_fma_f64 v[148:149], v[14:15], v[18:19], -v[148:149]
	v_mul_f64 v[14:15], v[14:15], v[20:21]
	v_fma_f64 v[150:151], v[16:17], v[18:19], v[14:15]
	global_load_dwordx4 v[18:21], v[22:23], off offset:3024
	ds_read_b128 v[14:17], v255 offset:3024
	ds_write_b128 v255, v[148:151] offset:2016
	;; [unrolled: 8-line block ×3, first 2 shown]
	s_waitcnt vmcnt(0) lgkmcnt(1)
	v_mul_f64 v[22:23], v[16:17], v[20:21]
	v_fma_f64 v[148:149], v[14:15], v[18:19], -v[22:23]
	v_mul_f64 v[14:15], v[14:15], v[20:21]
	v_add_co_u32_e32 v22, vcc, s10, v12
	v_addc_co_u32_e32 v23, vcc, 0, v13, vcc
	s_movk_i32 s10, 0x6000
	v_fma_f64 v[150:151], v[16:17], v[18:19], v[14:15]
	global_load_dwordx4 v[18:21], v[22:23], off offset:1696
	ds_read_b128 v[14:17], v255 offset:5040
	ds_write_b128 v255, v[148:151] offset:4032
	s_waitcnt vmcnt(0) lgkmcnt(1)
	v_mul_f64 v[148:149], v[16:17], v[20:21]
	v_fma_f64 v[148:149], v[14:15], v[18:19], -v[148:149]
	v_mul_f64 v[14:15], v[14:15], v[20:21]
	v_fma_f64 v[150:151], v[16:17], v[18:19], v[14:15]
	global_load_dwordx4 v[18:21], v[22:23], off offset:2704
	ds_read_b128 v[14:17], v255 offset:6048
	ds_write_b128 v255, v[148:151] offset:5040
	s_waitcnt vmcnt(0) lgkmcnt(1)
	v_mul_f64 v[148:149], v[16:17], v[20:21]
	v_fma_f64 v[148:149], v[14:15], v[18:19], -v[148:149]
	v_mul_f64 v[14:15], v[14:15], v[20:21]
	;; [unrolled: 8-line block ×3, first 2 shown]
	v_add_co_u32_e32 v22, vcc, s10, v12
	v_addc_co_u32_e32 v23, vcc, 0, v13, vcc
	s_movk_i32 s10, 0x7000
	v_fma_f64 v[150:151], v[16:17], v[18:19], v[14:15]
	global_load_dwordx4 v[18:21], v[22:23], off offset:624
	ds_read_b128 v[14:17], v255 offset:8064
	ds_write_b128 v255, v[148:151] offset:7056
	s_waitcnt vmcnt(0) lgkmcnt(1)
	v_mul_f64 v[148:149], v[16:17], v[20:21]
	v_fma_f64 v[148:149], v[14:15], v[18:19], -v[148:149]
	v_mul_f64 v[14:15], v[14:15], v[20:21]
	v_fma_f64 v[150:151], v[16:17], v[18:19], v[14:15]
	global_load_dwordx4 v[18:21], v[22:23], off offset:1632
	ds_read_b128 v[14:17], v255 offset:9072
	ds_write_b128 v255, v[148:151] offset:8064
	s_waitcnt vmcnt(0) lgkmcnt(1)
	v_mul_f64 v[148:149], v[16:17], v[20:21]
	v_fma_f64 v[148:149], v[14:15], v[18:19], -v[148:149]
	v_mul_f64 v[14:15], v[14:15], v[20:21]
	;; [unrolled: 8-line block ×4, first 2 shown]
	v_add_co_u32_e32 v22, vcc, s10, v12
	v_addc_co_u32_e32 v23, vcc, 0, v13, vcc
	s_mov_b32 s10, 0x8000
	v_add_co_u32_e32 v12, vcc, s10, v12
	v_fma_f64 v[150:151], v[16:17], v[18:19], v[14:15]
	global_load_dwordx4 v[18:21], v[22:23], off offset:560
	ds_read_b128 v[14:17], v255 offset:12096
	v_addc_co_u32_e32 v13, vcc, 0, v13, vcc
	ds_write_b128 v255, v[148:151] offset:11088
	s_waitcnt vmcnt(0) lgkmcnt(1)
	v_mul_f64 v[148:149], v[16:17], v[20:21]
	v_fma_f64 v[148:149], v[14:15], v[18:19], -v[148:149]
	v_mul_f64 v[14:15], v[14:15], v[20:21]
	v_fma_f64 v[150:151], v[16:17], v[18:19], v[14:15]
	global_load_dwordx4 v[18:21], v[22:23], off offset:1568
	ds_read_b128 v[14:17], v255 offset:13104
	ds_write_b128 v255, v[148:151] offset:12096
	s_waitcnt vmcnt(0) lgkmcnt(1)
	v_mul_f64 v[148:149], v[16:17], v[20:21]
	v_fma_f64 v[148:149], v[14:15], v[18:19], -v[148:149]
	v_mul_f64 v[14:15], v[14:15], v[20:21]
	v_fma_f64 v[150:151], v[16:17], v[18:19], v[14:15]
	global_load_dwordx4 v[18:21], v[22:23], off offset:2576
	ds_read_b128 v[14:17], v255 offset:14112
	ds_write_b128 v255, v[148:151] offset:13104
	s_waitcnt vmcnt(0) lgkmcnt(1)
	v_mul_f64 v[148:149], v[16:17], v[20:21]
	v_fma_f64 v[148:149], v[14:15], v[18:19], -v[148:149]
	v_mul_f64 v[14:15], v[14:15], v[20:21]
	v_fma_f64 v[150:151], v[16:17], v[18:19], v[14:15]
	global_load_dwordx4 v[18:21], v[22:23], off offset:3584
	ds_read_b128 v[14:17], v255 offset:15120
	ds_write_b128 v255, v[148:151] offset:14112
	s_waitcnt vmcnt(0) lgkmcnt(1)
	v_mul_f64 v[22:23], v[16:17], v[20:21]
	v_fma_f64 v[148:149], v[14:15], v[18:19], -v[22:23]
	v_mul_f64 v[14:15], v[14:15], v[20:21]
	v_fma_f64 v[150:151], v[16:17], v[18:19], v[14:15]
	global_load_dwordx4 v[18:21], v[12:13], off offset:496
	ds_read_b128 v[14:17], v255 offset:16128
	ds_write_b128 v255, v[148:151] offset:15120
	s_waitcnt vmcnt(0) lgkmcnt(1)
	v_mul_f64 v[12:13], v[16:17], v[20:21]
	v_fma_f64 v[12:13], v[14:15], v[18:19], -v[12:13]
	v_mul_f64 v[14:15], v[14:15], v[20:21]
	v_fma_f64 v[14:15], v[16:17], v[18:19], v[14:15]
	ds_write_b128 v255, v[12:15] offset:16128
.LBB0_13:
	s_or_b64 exec, exec, s[8:9]
	s_waitcnt lgkmcnt(0)
	s_barrier
	s_and_saveexec_b64 s[8:9], s[0:1]
	s_cbranch_execz .LBB0_15
; %bb.14:
	ds_read_b128 v[112:115], v255
	ds_read_b128 v[116:119], v255 offset:1008
	ds_read_b128 v[120:123], v255 offset:2016
	;; [unrolled: 1-line block ×16, first 2 shown]
.LBB0_15:
	s_or_b64 exec, exec, s[8:9]
	s_waitcnt lgkmcnt(0)
	v_add_f64 v[60:61], v[118:119], v[4:5]
	v_add_f64 v[48:49], v[118:119], -v[4:5]
	s_mov_b32 s8, 0x3259b75e
	s_mov_b32 s16, 0xeb564b22
	;; [unrolled: 1-line block ×4, first 2 shown]
	buffer_store_dword v32, off, s[64:67], 0 offset:296 ; 4-byte Folded Spill
	s_nop 0
	buffer_store_dword v33, off, s[64:67], 0 offset:300 ; 4-byte Folded Spill
	buffer_store_dword v34, off, s[64:67], 0 offset:304 ; 4-byte Folded Spill
	;; [unrolled: 1-line block ×3, first 2 shown]
	v_add_f64 v[195:196], v[116:117], -v[2:3]
	v_mul_f64 v[10:11], v[60:61], s[8:9]
	v_mul_f64 v[0:1], v[48:49], s[16:17]
	s_mov_b32 s20, 0x923c349f
	s_mov_b32 s21, 0xbfeec746
	v_add_f64 v[189:190], v[116:117], v[2:3]
	s_mov_b32 s10, 0xc61f0d01
	s_mov_b32 s24, 0x6c9a05f6
	;; [unrolled: 1-line block ×3, first 2 shown]
	buffer_store_dword v0, off, s[64:67], 0 offset:336 ; 4-byte Folded Spill
	s_nop 0
	buffer_store_dword v1, off, s[64:67], 0 offset:340 ; 4-byte Folded Spill
	buffer_store_dword v10, off, s[64:67], 0 offset:360 ; 4-byte Folded Spill
	s_nop 0
	buffer_store_dword v11, off, s[64:67], 0 offset:364 ; 4-byte Folded Spill
	s_mov_b32 s25, 0xbfe9895b
	v_add_f64 v[50:51], v[122:123], -v[8:9]
	s_mov_b32 s18, 0x6ed5f1bb
	s_mov_b32 s30, 0xacd6c6b4
	;; [unrolled: 1-line block ×4, first 2 shown]
	v_add_f64 v[199:200], v[122:123], v[8:9]
	s_mov_b32 s22, 0x910ea3b9
	s_mov_b32 s23, 0xbfeb34fa
	v_add_f64 v[197:198], v[120:121], v[6:7]
	s_mov_b32 s26, 0x7faef3
	s_mov_b32 s27, 0xbfef7484
	v_add_f64 v[203:204], v[120:121], -v[6:7]
	s_mov_b32 s28, 0x4363dd80
	v_mul_f64 v[24:25], v[199:200], s[22:23]
	v_mul_f64 v[201:202], v[199:200], s[26:27]
	s_mov_b32 s29, 0xbfe0d888
	s_mov_b32 s43, 0x3fe0d888
	;; [unrolled: 1-line block ×3, first 2 shown]
	v_mul_f64 v[186:187], v[50:51], s[42:43]
	s_mov_b32 s47, 0x3feec746
	s_mov_b32 s46, s20
	v_mul_f64 v[26:27], v[199:200], s[10:11]
	v_mov_b32_e32 v62, v217
	v_mov_b32_e32 v64, v219
	;; [unrolled: 1-line block ×3, first 2 shown]
	v_add_f64 v[211:212], v[126:127], -v[64:65]
	v_mul_f64 v[182:183], v[60:61], s[18:19]
	v_add_f64 v[207:208], v[126:127], v[219:220]
	v_mul_f64 v[148:149], v[48:49], s[28:29]
	s_mov_b32 s50, 0x7c9e640b
	s_mov_b32 s51, 0x3feca52d
	;; [unrolled: 1-line block ×4, first 2 shown]
	v_mul_f64 v[152:153], v[60:61], s[22:23]
	v_fma_f64 v[22:23], v[195:196], s[24:25], v[182:183]
	v_mul_f64 v[156:157], v[48:49], s[30:31]
	v_fma_f64 v[150:151], v[189:190], s[22:23], v[148:149]
	v_fma_f64 v[148:149], v[189:190], s[22:23], -v[148:149]
	s_mov_b32 s52, 0x5d8e7cdc
	s_mov_b32 s53, 0x3fd71e95
	;; [unrolled: 1-line block ×3, first 2 shown]
	v_fma_f64 v[154:155], v[195:196], s[42:43], v[152:153]
	v_add_f64 v[22:23], v[114:115], v[22:23]
	v_fma_f64 v[152:153], v[195:196], s[28:29], v[152:153]
	v_add_f64 v[150:151], v[112:113], v[150:151]
	v_add_f64 v[148:149], v[112:113], v[148:149]
	v_fma_f64 v[158:159], v[189:190], s[26:27], v[156:157]
	s_mov_b32 s37, 0xbfeca52d
	s_mov_b32 s36, s50
	;; [unrolled: 1-line block ×3, first 2 shown]
	v_mul_f64 v[160:161], v[60:61], s[26:27]
	v_add_f64 v[152:153], v[114:115], v[152:153]
	v_fma_f64 v[156:157], v[189:190], s[26:27], -v[156:157]
	s_mov_b32 s49, 0x3fc7851a
	v_add_f64 v[158:159], v[112:113], v[158:159]
	s_mov_b32 s48, s30
	v_add_f64 v[205:206], v[124:125], v[217:218]
	s_mov_b32 s56, 0x2a9d6da3
	v_fma_f64 v[162:163], v[195:196], s[48:49], v[160:161]
	v_fma_f64 v[160:161], v[195:196], s[30:31], v[160:161]
	v_add_f64 v[156:157], v[112:113], v[156:157]
	s_mov_b32 s57, 0x3fe58eea
	v_add_f64 v[209:210], v[124:125], -v[217:218]
	s_mov_b32 s44, 0x75d4884
	s_mov_b32 s45, 0x3fe7a5f6
	;; [unrolled: 1-line block ×4, first 2 shown]
	v_add_f64 v[160:161], v[114:115], v[160:161]
	v_mov_b32_e32 v63, v218
	v_add_f64 v[219:220], v[134:135], -v[110:111]
	v_add_f64 v[215:216], v[134:135], v[110:111]
	v_add_f64 v[154:155], v[114:115], v[154:155]
	;; [unrolled: 1-line block ×3, first 2 shown]
	s_mov_b32 s59, 0x3fefdd0d
	s_mov_b32 s58, s16
	v_add_f64 v[213:214], v[132:133], v[108:109]
	v_fma_f64 v[12:13], v[189:190], s[8:9], -v[0:1]
	v_fma_f64 v[14:15], v[195:196], s[16:17], v[10:11]
	v_mul_f64 v[10:11], v[48:49], s[20:21]
	v_mul_f64 v[0:1], v[60:61], s[10:11]
	v_add_f64 v[217:218], v[132:133], -v[108:109]
	v_add_f64 v[233:234], v[142:143], -v[106:107]
	v_add_f64 v[223:224], v[142:143], v[106:107]
	buffer_store_dword v10, off, s[64:67], 0 offset:384 ; 4-byte Folded Spill
	s_nop 0
	buffer_store_dword v11, off, s[64:67], 0 offset:388 ; 4-byte Folded Spill
	v_add_f64 v[12:13], v[112:113], v[12:13]
	v_add_f64 v[14:15], v[114:115], v[14:15]
	v_fma_f64 v[18:19], v[195:196], s[20:21], v[0:1]
	s_mov_b32 s61, 0x3fe9895b
	s_mov_b32 s60, s24
	v_add_f64 v[221:222], v[140:141], v[104:105]
	v_add_f64 v[227:228], v[140:141], -v[104:105]
	v_add_f64 v[251:252], v[138:139], -v[34:35]
	s_mov_b32 s55, 0xbfe58eea
	s_mov_b32 s54, s56
	v_add_f64 v[18:19], v[114:115], v[18:19]
	v_add_f64 v[239:240], v[138:139], v[34:35]
	;; [unrolled: 1-line block ×3, first 2 shown]
	v_add_f64 v[245:246], v[136:137], -v[32:33]
	v_add_f64 v[235:236], v[146:147], -v[98:99]
	v_mul_f64 v[184:185], v[251:252], s[54:55]
	v_add_f64 v[229:230], v[146:147], v[98:99]
	v_add_f64 v[225:226], v[144:145], v[96:97]
	v_add_f64 v[231:232], v[144:145], -v[96:97]
	v_mul_f64 v[176:177], v[239:240], s[44:45]
	v_add_f64 v[247:248], v[130:131], -v[94:95]
	v_add_f64 v[241:242], v[128:129], v[92:93]
	v_add_f64 v[243:244], v[130:131], v[94:95]
	v_add_f64 v[249:250], v[128:129], -v[92:93]
	v_mul_f64 v[178:179], v[229:230], s[26:27]
	v_mul_f64 v[100:101], v[247:248], s[24:25]
	;; [unrolled: 1-line block ×5, first 2 shown]
	v_fma_f64 v[16:17], v[189:190], s[10:11], -v[10:11]
	v_mul_f64 v[10:11], v[48:49], s[24:25]
	buffer_store_dword v10, off, s[64:67], 0 offset:440 ; 4-byte Folded Spill
	s_nop 0
	buffer_store_dword v11, off, s[64:67], 0 offset:444 ; 4-byte Folded Spill
	v_add_f64 v[16:17], v[112:113], v[16:17]
	v_fma_f64 v[20:21], v[189:190], s[18:19], -v[10:11]
	v_mul_f64 v[10:11], v[50:51], s[30:31]
	buffer_store_dword v10, off, s[64:67], 0 offset:408 ; 4-byte Folded Spill
	s_nop 0
	buffer_store_dword v11, off, s[64:67], 0 offset:412 ; 4-byte Folded Spill
	buffer_store_dword v24, off, s[64:67], 0 offset:184 ; 4-byte Folded Spill
	s_nop 0
	buffer_store_dword v25, off, s[64:67], 0 offset:188 ; 4-byte Folded Spill
	v_add_f64 v[20:21], v[112:113], v[20:21]
	v_fma_f64 v[164:165], v[197:198], s[26:27], -v[10:11]
	v_add_f64 v[12:13], v[164:165], v[12:13]
	v_fma_f64 v[164:165], v[203:204], s[30:31], v[201:202]
	v_add_f64 v[14:15], v[164:165], v[14:15]
	v_fma_f64 v[164:165], v[197:198], s[22:23], -v[186:187]
	v_add_f64 v[16:17], v[164:165], v[16:17]
	v_fma_f64 v[164:165], v[203:204], s[42:43], v[24:25]
	v_mul_f64 v[24:25], v[50:51], s[46:47]
	buffer_store_dword v24, off, s[64:67], 0 offset:216 ; 4-byte Folded Spill
	s_nop 0
	buffer_store_dword v25, off, s[64:67], 0 offset:220 ; 4-byte Folded Spill
	buffer_store_dword v26, off, s[64:67], 0 offset:272 ; 4-byte Folded Spill
	s_nop 0
	buffer_store_dword v27, off, s[64:67], 0 offset:276 ; 4-byte Folded Spill
	v_add_f64 v[18:19], v[164:165], v[18:19]
	v_fma_f64 v[164:165], v[197:198], s[10:11], -v[24:25]
	v_mul_f64 v[24:25], v[211:212], s[46:47]
	buffer_store_dword v24, off, s[64:67], 0 offset:176 ; 4-byte Folded Spill
	s_nop 0
	buffer_store_dword v25, off, s[64:67], 0 offset:180 ; 4-byte Folded Spill
	v_add_f64 v[20:21], v[164:165], v[20:21]
	v_fma_f64 v[164:165], v[203:204], s[46:47], v[26:27]
	v_mul_f64 v[26:27], v[207:208], s[10:11]
	buffer_store_dword v26, off, s[64:67], 0 offset:200 ; 4-byte Folded Spill
	s_nop 0
	buffer_store_dword v27, off, s[64:67], 0 offset:204 ; 4-byte Folded Spill
	v_add_f64 v[22:23], v[164:165], v[22:23]
	v_mul_f64 v[164:165], v[50:51], s[50:51]
	v_fma_f64 v[166:167], v[197:198], s[34:35], v[164:165]
	v_fma_f64 v[164:165], v[197:198], s[34:35], -v[164:165]
	v_add_f64 v[150:151], v[166:167], v[150:151]
	v_mul_f64 v[166:167], v[199:200], s[34:35]
	v_add_f64 v[148:149], v[164:165], v[148:149]
	v_fma_f64 v[164:165], v[203:204], s[50:51], v[166:167]
	v_fma_f64 v[168:169], v[203:204], s[36:37], v[166:167]
	v_add_f64 v[152:153], v[164:165], v[152:153]
	v_mul_f64 v[164:165], v[50:51], s[52:53]
	v_add_f64 v[154:155], v[168:169], v[154:155]
	v_fma_f64 v[166:167], v[197:198], s[38:39], v[164:165]
	v_fma_f64 v[164:165], v[197:198], s[38:39], -v[164:165]
	v_add_f64 v[158:159], v[166:167], v[158:159]
	v_mul_f64 v[166:167], v[199:200], s[38:39]
	v_add_f64 v[156:157], v[164:165], v[156:157]
	v_fma_f64 v[164:165], v[203:204], s[52:53], v[166:167]
	v_fma_f64 v[168:169], v[203:204], s[40:41], v[166:167]
	v_add_f64 v[160:161], v[164:165], v[160:161]
	v_fma_f64 v[164:165], v[205:206], s[10:11], -v[24:25]
	v_mul_f64 v[24:25], v[211:212], s[56:57]
	buffer_store_dword v24, off, s[64:67], 0 offset:232 ; 4-byte Folded Spill
	s_nop 0
	buffer_store_dword v25, off, s[64:67], 0 offset:236 ; 4-byte Folded Spill
	v_add_f64 v[12:13], v[164:165], v[12:13]
	v_fma_f64 v[164:165], v[209:210], s[46:47], v[26:27]
	v_mul_f64 v[26:27], v[207:208], s[44:45]
	buffer_store_dword v26, off, s[64:67], 0 offset:248 ; 4-byte Folded Spill
	s_nop 0
	buffer_store_dword v27, off, s[64:67], 0 offset:252 ; 4-byte Folded Spill
	v_add_f64 v[14:15], v[164:165], v[14:15]
	v_add_f64 v[162:163], v[168:169], v[162:163]
	v_fma_f64 v[164:165], v[205:206], s[44:45], -v[24:25]
	v_mul_f64 v[24:25], v[211:212], s[40:41]
	buffer_store_dword v24, off, s[64:67], 0 offset:288 ; 4-byte Folded Spill
	s_nop 0
	buffer_store_dword v25, off, s[64:67], 0 offset:292 ; 4-byte Folded Spill
	v_add_f64 v[16:17], v[164:165], v[16:17]
	v_fma_f64 v[164:165], v[209:210], s[56:57], v[26:27]
	v_mul_f64 v[26:27], v[207:208], s[38:39]
	buffer_store_dword v26, off, s[64:67], 0 offset:352 ; 4-byte Folded Spill
	s_nop 0
	buffer_store_dword v27, off, s[64:67], 0 offset:356 ; 4-byte Folded Spill
	v_add_f64 v[18:19], v[164:165], v[18:19]
	v_fma_f64 v[164:165], v[205:206], s[38:39], -v[24:25]
	v_mul_f64 v[24:25], v[219:220], s[52:53]
	buffer_store_dword v24, off, s[64:67], 0 offset:256 ; 4-byte Folded Spill
	s_nop 0
	buffer_store_dword v25, off, s[64:67], 0 offset:260 ; 4-byte Folded Spill
	v_add_f64 v[20:21], v[164:165], v[20:21]
	v_fma_f64 v[164:165], v[209:210], s[40:41], v[26:27]
	v_mul_f64 v[26:27], v[215:216], s[38:39]
	buffer_store_dword v26, off, s[64:67], 0 offset:264 ; 4-byte Folded Spill
	s_nop 0
	buffer_store_dword v27, off, s[64:67], 0 offset:268 ; 4-byte Folded Spill
	v_add_f64 v[22:23], v[164:165], v[22:23]
	v_mul_f64 v[164:165], v[211:212], s[16:17]
	v_fma_f64 v[166:167], v[205:206], s[8:9], v[164:165]
	v_fma_f64 v[164:165], v[205:206], s[8:9], -v[164:165]
	v_add_f64 v[150:151], v[166:167], v[150:151]
	v_mul_f64 v[166:167], v[207:208], s[8:9]
	v_add_f64 v[148:149], v[164:165], v[148:149]
	v_fma_f64 v[164:165], v[209:210], s[16:17], v[166:167]
	v_fma_f64 v[168:169], v[209:210], s[58:59], v[166:167]
	v_add_f64 v[152:153], v[164:165], v[152:153]
	v_mul_f64 v[164:165], v[211:212], s[28:29]
	v_add_f64 v[154:155], v[168:169], v[154:155]
	v_fma_f64 v[166:167], v[205:206], s[22:23], v[164:165]
	v_fma_f64 v[164:165], v[205:206], s[22:23], -v[164:165]
	v_add_f64 v[158:159], v[166:167], v[158:159]
	v_mul_f64 v[166:167], v[207:208], s[22:23]
	v_add_f64 v[156:157], v[164:165], v[156:157]
	v_fma_f64 v[164:165], v[209:210], s[28:29], v[166:167]
	v_fma_f64 v[168:169], v[209:210], s[42:43], v[166:167]
	v_add_f64 v[160:161], v[164:165], v[160:161]
	v_fma_f64 v[164:165], v[213:214], s[38:39], -v[24:25]
	v_mul_f64 v[24:25], v[219:220], s[36:37]
	buffer_store_dword v24, off, s[64:67], 0 offset:280 ; 4-byte Folded Spill
	s_nop 0
	buffer_store_dword v25, off, s[64:67], 0 offset:284 ; 4-byte Folded Spill
	v_add_f64 v[12:13], v[164:165], v[12:13]
	v_fma_f64 v[164:165], v[217:218], s[52:53], v[26:27]
	v_mul_f64 v[26:27], v[215:216], s[34:35]
	buffer_store_dword v26, off, s[64:67], 0 offset:320 ; 4-byte Folded Spill
	s_nop 0
	buffer_store_dword v27, off, s[64:67], 0 offset:324 ; 4-byte Folded Spill
	v_add_f64 v[14:15], v[164:165], v[14:15]
	v_add_f64 v[162:163], v[168:169], v[162:163]
	v_fma_f64 v[164:165], v[213:214], s[34:35], -v[24:25]
	v_mul_f64 v[24:25], v[219:220], s[28:29]
	buffer_store_dword v24, off, s[64:67], 0 offset:344 ; 4-byte Folded Spill
	s_nop 0
	buffer_store_dword v25, off, s[64:67], 0 offset:348 ; 4-byte Folded Spill
	v_add_f64 v[16:17], v[164:165], v[16:17]
	v_fma_f64 v[164:165], v[217:218], s[36:37], v[26:27]
	v_mul_f64 v[26:27], v[215:216], s[22:23]
	buffer_store_dword v26, off, s[64:67], 0 offset:400 ; 4-byte Folded Spill
	s_nop 0
	buffer_store_dword v27, off, s[64:67], 0 offset:404 ; 4-byte Folded Spill
	v_add_f64 v[18:19], v[164:165], v[18:19]
	v_fma_f64 v[164:165], v[213:214], s[22:23], -v[24:25]
	v_mul_f64 v[24:25], v[233:234], s[36:37]
	buffer_store_dword v24, off, s[64:67], 0 offset:312 ; 4-byte Folded Spill
	s_nop 0
	buffer_store_dword v25, off, s[64:67], 0 offset:316 ; 4-byte Folded Spill
	v_add_f64 v[20:21], v[164:165], v[20:21]
	v_fma_f64 v[164:165], v[217:218], s[28:29], v[26:27]
	v_mul_f64 v[26:27], v[223:224], s[34:35]
	buffer_store_dword v26, off, s[64:67], 0 offset:328 ; 4-byte Folded Spill
	s_nop 0
	buffer_store_dword v27, off, s[64:67], 0 offset:332 ; 4-byte Folded Spill
	v_add_f64 v[22:23], v[164:165], v[22:23]
	v_mul_f64 v[164:165], v[219:220], s[60:61]
	v_fma_f64 v[166:167], v[213:214], s[18:19], v[164:165]
	v_fma_f64 v[164:165], v[213:214], s[18:19], -v[164:165]
	v_add_f64 v[150:151], v[166:167], v[150:151]
	v_mul_f64 v[166:167], v[215:216], s[18:19]
	v_add_f64 v[148:149], v[164:165], v[148:149]
	v_fma_f64 v[164:165], v[217:218], s[60:61], v[166:167]
	v_fma_f64 v[168:169], v[217:218], s[24:25], v[166:167]
	v_add_f64 v[152:153], v[164:165], v[152:153]
	v_mul_f64 v[164:165], v[219:220], s[56:57]
	v_add_f64 v[154:155], v[168:169], v[154:155]
	v_fma_f64 v[166:167], v[213:214], s[44:45], v[164:165]
	v_fma_f64 v[164:165], v[213:214], s[44:45], -v[164:165]
	v_add_f64 v[158:159], v[166:167], v[158:159]
	v_mul_f64 v[166:167], v[215:216], s[44:45]
	v_add_f64 v[156:157], v[164:165], v[156:157]
	v_fma_f64 v[164:165], v[217:218], s[56:57], v[166:167]
	v_fma_f64 v[168:169], v[217:218], s[54:55], v[166:167]
	v_add_f64 v[160:161], v[164:165], v[160:161]
	v_fma_f64 v[164:165], v[221:222], s[34:35], -v[24:25]
	v_mul_f64 v[24:25], v[233:234], s[30:31]
	buffer_store_dword v24, off, s[64:67], 0 offset:368 ; 4-byte Folded Spill
	s_nop 0
	buffer_store_dword v25, off, s[64:67], 0 offset:372 ; 4-byte Folded Spill
	v_add_f64 v[12:13], v[164:165], v[12:13]
	v_fma_f64 v[164:165], v[227:228], s[36:37], v[26:27]
	v_mul_f64 v[26:27], v[223:224], s[26:27]
	buffer_store_dword v26, off, s[64:67], 0 offset:392 ; 4-byte Folded Spill
	s_nop 0
	buffer_store_dword v27, off, s[64:67], 0 offset:396 ; 4-byte Folded Spill
	v_add_f64 v[14:15], v[164:165], v[14:15]
	v_add_f64 v[162:163], v[168:169], v[162:163]
	v_fma_f64 v[164:165], v[221:222], s[26:27], -v[24:25]
	v_mul_f64 v[24:25], v[233:234], s[58:59]
	v_add_f64 v[16:17], v[164:165], v[16:17]
	v_mov_b32_e32 v91, v25
	v_mov_b32_e32 v90, v24
	v_fma_f64 v[164:165], v[227:228], s[30:31], v[26:27]
	v_mul_f64 v[26:27], v[223:224], s[8:9]
	v_add_f64 v[18:19], v[164:165], v[18:19]
	v_fma_f64 v[164:165], v[221:222], s[8:9], -v[24:25]
	v_mul_f64 v[24:25], v[251:252], s[28:29]
	buffer_store_dword v24, off, s[64:67], 0 offset:376 ; 4-byte Folded Spill
	s_nop 0
	buffer_store_dword v25, off, s[64:67], 0 offset:380 ; 4-byte Folded Spill
	v_add_f64 v[20:21], v[164:165], v[20:21]
	v_fma_f64 v[164:165], v[227:228], s[58:59], v[26:27]
	v_mov_b32_e32 v10, v26
	v_mov_b32_e32 v11, v27
	v_mul_f64 v[26:27], v[239:240], s[22:23]
	buffer_store_dword v26, off, s[64:67], 0 offset:416 ; 4-byte Folded Spill
	s_nop 0
	buffer_store_dword v27, off, s[64:67], 0 offset:420 ; 4-byte Folded Spill
	v_add_f64 v[22:23], v[164:165], v[22:23]
	v_mul_f64 v[164:165], v[233:234], s[40:41]
	v_fma_f64 v[166:167], v[221:222], s[38:39], v[164:165]
	v_fma_f64 v[164:165], v[221:222], s[38:39], -v[164:165]
	v_add_f64 v[150:151], v[166:167], v[150:151]
	v_mul_f64 v[166:167], v[223:224], s[38:39]
	v_add_f64 v[148:149], v[164:165], v[148:149]
	v_fma_f64 v[164:165], v[227:228], s[40:41], v[166:167]
	v_fma_f64 v[168:169], v[227:228], s[52:53], v[166:167]
	v_add_f64 v[152:153], v[164:165], v[152:153]
	v_mul_f64 v[164:165], v[233:234], s[24:25]
	v_add_f64 v[154:155], v[168:169], v[154:155]
	v_fma_f64 v[166:167], v[221:222], s[18:19], v[164:165]
	v_fma_f64 v[164:165], v[221:222], s[18:19], -v[164:165]
	v_add_f64 v[158:159], v[166:167], v[158:159]
	v_mul_f64 v[166:167], v[223:224], s[18:19]
	v_add_f64 v[156:157], v[164:165], v[156:157]
	v_fma_f64 v[164:165], v[227:228], s[24:25], v[166:167]
	v_fma_f64 v[168:169], v[227:228], s[60:61], v[166:167]
	v_add_f64 v[160:161], v[164:165], v[160:161]
	v_fma_f64 v[164:165], v[237:238], s[22:23], -v[24:25]
	v_mul_f64 v[24:25], v[251:252], s[58:59]
	buffer_store_dword v24, off, s[64:67], 0 offset:424 ; 4-byte Folded Spill
	s_nop 0
	buffer_store_dword v25, off, s[64:67], 0 offset:428 ; 4-byte Folded Spill
	v_add_f64 v[12:13], v[164:165], v[12:13]
	v_fma_f64 v[164:165], v[245:246], s[28:29], v[26:27]
	v_mul_f64 v[26:27], v[239:240], s[8:9]
	v_add_f64 v[162:163], v[168:169], v[162:163]
	v_add_f64 v[14:15], v[164:165], v[14:15]
	v_mov_b32_e32 v181, v27
	v_mov_b32_e32 v180, v26
	v_fma_f64 v[164:165], v[237:238], s[8:9], -v[24:25]
	v_mul_f64 v[24:25], v[235:236], s[60:61]
	buffer_store_dword v24, off, s[64:67], 0 offset:432 ; 4-byte Folded Spill
	s_nop 0
	buffer_store_dword v25, off, s[64:67], 0 offset:436 ; 4-byte Folded Spill
	v_add_f64 v[16:17], v[164:165], v[16:17]
	v_fma_f64 v[164:165], v[245:246], s[58:59], v[26:27]
	v_mul_f64 v[26:27], v[229:230], s[18:19]
	buffer_store_dword v26, off, s[64:67], 0 offset:448 ; 4-byte Folded Spill
	s_nop 0
	buffer_store_dword v27, off, s[64:67], 0 offset:452 ; 4-byte Folded Spill
	v_add_f64 v[18:19], v[164:165], v[18:19]
	v_fma_f64 v[164:165], v[237:238], s[44:45], -v[184:185]
	v_add_f64 v[20:21], v[164:165], v[20:21]
	v_fma_f64 v[164:165], v[245:246], s[54:55], v[176:177]
	v_add_f64 v[22:23], v[164:165], v[22:23]
	v_mul_f64 v[164:165], v[251:252], s[30:31]
	v_fma_f64 v[166:167], v[237:238], s[26:27], v[164:165]
	v_fma_f64 v[164:165], v[237:238], s[26:27], -v[164:165]
	v_add_f64 v[150:151], v[166:167], v[150:151]
	v_mul_f64 v[166:167], v[239:240], s[26:27]
	v_add_f64 v[148:149], v[164:165], v[148:149]
	v_fma_f64 v[164:165], v[245:246], s[30:31], v[166:167]
	v_fma_f64 v[168:169], v[245:246], s[48:49], v[166:167]
	v_add_f64 v[152:153], v[164:165], v[152:153]
	v_mul_f64 v[164:165], v[251:252], s[50:51]
	v_add_f64 v[154:155], v[168:169], v[154:155]
	v_fma_f64 v[166:167], v[237:238], s[34:35], v[164:165]
	v_fma_f64 v[164:165], v[237:238], s[34:35], -v[164:165]
	v_add_f64 v[158:159], v[166:167], v[158:159]
	v_mul_f64 v[166:167], v[239:240], s[34:35]
	v_add_f64 v[156:157], v[164:165], v[156:157]
	v_fma_f64 v[164:165], v[245:246], s[50:51], v[166:167]
	v_fma_f64 v[168:169], v[245:246], s[36:37], v[166:167]
	v_add_f64 v[160:161], v[164:165], v[160:161]
	v_fma_f64 v[164:165], v[225:226], s[18:19], -v[24:25]
	v_mul_f64 v[24:25], v[229:230], s[38:39]
	v_add_f64 v[162:163], v[168:169], v[162:163]
	v_add_f64 v[164:165], v[164:165], v[12:13]
	v_fma_f64 v[12:13], v[231:232], s[60:61], v[26:27]
	v_add_f64 v[14:15], v[12:13], v[14:15]
	v_mul_f64 v[12:13], v[235:236], s[40:41]
	buffer_store_dword v12, off, s[64:67], 0 offset:456 ; 4-byte Folded Spill
	s_nop 0
	buffer_store_dword v13, off, s[64:67], 0 offset:460 ; 4-byte Folded Spill
	buffer_store_dword v24, off, s[64:67], 0 offset:464 ; 4-byte Folded Spill
	s_nop 0
	buffer_store_dword v25, off, s[64:67], 0 offset:468 ; 4-byte Folded Spill
	s_waitcnt vmcnt(0)
	s_barrier
	v_fma_f64 v[12:13], v[225:226], s[38:39], -v[12:13]
	v_add_f64 v[166:167], v[12:13], v[16:17]
	v_fma_f64 v[12:13], v[231:232], s[40:41], v[24:25]
	v_add_f64 v[24:25], v[12:13], v[18:19]
	v_mul_f64 v[18:19], v[235:236], s[30:31]
	v_fma_f64 v[12:13], v[225:226], s[26:27], -v[18:19]
	v_add_f64 v[26:27], v[12:13], v[20:21]
	v_fma_f64 v[12:13], v[231:232], s[30:31], v[178:179]
	v_add_f64 v[28:29], v[12:13], v[22:23]
	v_mul_f64 v[12:13], v[235:236], s[56:57]
	v_mul_f64 v[22:23], v[243:244], s[34:35]
	v_fma_f64 v[16:17], v[225:226], s[44:45], v[12:13]
	v_fma_f64 v[12:13], v[225:226], s[44:45], -v[12:13]
	v_add_f64 v[30:31], v[16:17], v[150:151]
	v_mul_f64 v[16:17], v[229:230], s[44:45]
	v_add_f64 v[34:35], v[12:13], v[148:149]
	v_fma_f64 v[12:13], v[231:232], s[56:57], v[16:17]
	v_fma_f64 v[20:21], v[231:232], s[54:55], v[16:17]
	v_add_f64 v[253:254], v[12:13], v[152:153]
	v_mul_f64 v[12:13], v[235:236], s[20:21]
	v_add_f64 v[32:33], v[20:21], v[154:155]
	v_fma_f64 v[16:17], v[225:226], s[10:11], v[12:13]
	v_fma_f64 v[12:13], v[225:226], s[10:11], -v[12:13]
	v_add_f64 v[168:169], v[16:17], v[158:159]
	v_mul_f64 v[16:17], v[229:230], s[10:11]
	v_add_f64 v[172:173], v[12:13], v[156:157]
	v_fma_f64 v[20:21], v[231:232], s[46:47], v[16:17]
	v_fma_f64 v[12:13], v[231:232], s[20:21], v[16:17]
	v_fma_f64 v[16:17], v[241:242], s[44:45], -v[191:192]
	v_add_f64 v[170:171], v[20:21], v[162:163]
	v_fma_f64 v[20:21], v[241:242], s[18:19], -v[100:101]
	v_add_f64 v[174:175], v[12:13], v[160:161]
	v_add_f64 v[148:149], v[16:17], v[164:165]
	v_fma_f64 v[16:17], v[249:250], s[56:57], v[102:103]
	v_add_f64 v[152:153], v[20:21], v[166:167]
	v_fma_f64 v[20:21], v[249:250], s[24:25], v[44:45]
	v_add_f64 v[150:151], v[16:17], v[14:15]
	v_add_f64 v[154:155], v[20:21], v[24:25]
	v_mul_f64 v[20:21], v[247:248], s[50:51]
	v_fma_f64 v[24:25], v[241:242], s[34:35], -v[20:21]
	v_add_f64 v[156:157], v[24:25], v[26:27]
	v_fma_f64 v[24:25], v[249:250], s[50:51], v[22:23]
	v_add_f64 v[158:159], v[24:25], v[28:29]
	v_mul_f64 v[24:25], v[247:248], s[20:21]
	v_fma_f64 v[26:27], v[241:242], s[10:11], v[24:25]
	v_fma_f64 v[24:25], v[241:242], s[10:11], -v[24:25]
	v_add_f64 v[160:161], v[26:27], v[30:31]
	v_mul_f64 v[26:27], v[243:244], s[10:11]
	v_add_f64 v[164:165], v[24:25], v[34:35]
	v_fma_f64 v[24:25], v[249:250], s[20:21], v[26:27]
	v_fma_f64 v[28:29], v[249:250], s[46:47], v[26:27]
	v_add_f64 v[166:167], v[24:25], v[253:254]
	v_mul_f64 v[24:25], v[247:248], s[58:59]
	v_add_f64 v[162:163], v[28:29], v[32:33]
	v_fma_f64 v[26:27], v[241:242], s[8:9], v[24:25]
	v_fma_f64 v[24:25], v[241:242], s[8:9], -v[24:25]
	v_add_f64 v[168:169], v[26:27], v[168:169]
	v_mul_f64 v[26:27], v[243:244], s[8:9]
	v_add_f64 v[172:173], v[24:25], v[172:173]
	v_fma_f64 v[28:29], v[249:250], s[16:17], v[26:27]
	v_fma_f64 v[24:25], v[249:250], s[58:59], v[26:27]
	v_add_f64 v[170:171], v[28:29], v[170:171]
	v_add_f64 v[174:175], v[24:25], v[174:175]
	s_and_saveexec_b64 s[62:63], s[0:1]
	s_cbranch_execz .LBB0_17
; %bb.16:
	v_mul_f64 v[28:29], v[227:228], s[58:59]
	v_mul_f64 v[30:31], v[217:218], s[28:29]
	;; [unrolled: 1-line block ×8, first 2 shown]
	v_add_f64 v[28:29], v[10:11], -v[28:29]
	buffer_load_dword v10, off, s[64:67], 0 offset:400 ; 4-byte Folded Reload
	buffer_load_dword v11, off, s[64:67], 0 offset:404 ; 4-byte Folded Reload
	v_add_f64 v[22:23], v[22:23], -v[24:25]
	v_mul_f64 v[24:25], v[231:232], s[30:31]
	v_add_f64 v[26:27], v[176:177], -v[26:27]
	v_mul_f64 v[176:177], v[195:196], s[24:25]
	;; [unrolled: 2-line block ×4, first 2 shown]
	v_add_f64 v[20:21], v[178:179], v[20:21]
	v_mul_f64 v[178:179], v[225:226], s[26:27]
	v_add_f64 v[176:177], v[114:115], v[176:177]
	v_add_f64 v[18:19], v[178:179], v[18:19]
	v_mul_f64 v[178:179], v[205:206], s[38:39]
	s_waitcnt vmcnt(0)
	v_add_f64 v[30:31], v[10:11], -v[30:31]
	buffer_load_dword v10, off, s[64:67], 0 offset:352 ; 4-byte Folded Reload
	buffer_load_dword v11, off, s[64:67], 0 offset:356 ; 4-byte Folded Reload
	;; [unrolled: 1-line block ×4, first 2 shown]
	s_waitcnt vmcnt(2)
	v_add_f64 v[32:33], v[10:11], -v[32:33]
	buffer_load_dword v10, off, s[64:67], 0 offset:288 ; 4-byte Folded Reload
	buffer_load_dword v11, off, s[64:67], 0 offset:292 ; 4-byte Folded Reload
	s_waitcnt vmcnt(2)
	v_add_f64 v[34:35], v[12:13], -v[34:35]
	v_add_f64 v[34:35], v[34:35], v[176:177]
	v_mul_f64 v[176:177], v[189:190], s[18:19]
	v_add_f64 v[32:33], v[32:33], v[34:35]
	v_add_f64 v[30:31], v[30:31], v[32:33]
	v_mul_f64 v[32:33], v[195:196], s[20:21]
	v_add_f64 v[32:33], v[0:1], -v[32:33]
	v_mul_f64 v[0:1], v[189:190], s[8:9]
	v_add_f64 v[32:33], v[114:115], v[32:33]
	s_waitcnt vmcnt(0)
	v_add_f64 v[178:179], v[178:179], v[10:11]
	buffer_load_dword v10, off, s[64:67], 0 offset:440 ; 4-byte Folded Reload
	buffer_load_dword v11, off, s[64:67], 0 offset:444 ; 4-byte Folded Reload
	s_waitcnt vmcnt(0)
	v_add_f64 v[176:177], v[176:177], v[10:11]
	buffer_load_dword v10, off, s[64:67], 0 offset:216 ; 4-byte Folded Reload
	buffer_load_dword v11, off, s[64:67], 0 offset:220 ; 4-byte Folded Reload
	v_add_f64 v[176:177], v[112:113], v[176:177]
	s_waitcnt vmcnt(0)
	v_add_f64 v[253:254], v[253:254], v[10:11]
	buffer_load_dword v10, off, s[64:67], 0 offset:344 ; 4-byte Folded Reload
	buffer_load_dword v11, off, s[64:67], 0 offset:348 ; 4-byte Folded Reload
	s_nop 0
	buffer_store_dword v52, off, s[64:67], 0 offset:216 ; 4-byte Folded Spill
	s_nop 0
	buffer_store_dword v53, off, s[64:67], 0 offset:220 ; 4-byte Folded Spill
	buffer_store_dword v54, off, s[64:67], 0 offset:224 ; 4-byte Folded Spill
	;; [unrolled: 1-line block ×3, first 2 shown]
	v_mov_b32_e32 v55, v5
	v_mov_b32_e32 v54, v4
	;; [unrolled: 1-line block ×4, first 2 shown]
	buffer_load_dword v4, off, s[64:67], 0 offset:320 ; 4-byte Folded Reload
	buffer_load_dword v5, off, s[64:67], 0 offset:324 ; 4-byte Folded Reload
	v_add_f64 v[176:177], v[253:254], v[176:177]
	v_mul_f64 v[253:254], v[213:214], s[22:23]
	v_add_f64 v[2:3], v[28:29], v[30:31]
	v_mul_f64 v[28:29], v[195:196], s[16:17]
	;; [unrolled: 2-line block ×3, first 2 shown]
	v_mul_f64 v[178:179], v[237:238], s[44:45]
	v_add_f64 v[2:3], v[26:27], v[2:3]
	v_add_f64 v[176:177], v[176:177], v[90:91]
	;; [unrolled: 1-line block ×4, first 2 shown]
	v_mul_f64 v[24:25], v[227:228], s[30:31]
	v_mul_f64 v[184:185], v[203:204], s[42:43]
	s_waitcnt vmcnt(6)
	v_add_f64 v[253:254], v[253:254], v[10:11]
	v_add_f64 v[34:35], v[253:254], v[34:35]
	v_mul_f64 v[253:254], v[217:218], s[36:37]
	v_add_f64 v[30:31], v[176:177], v[34:35]
	s_waitcnt vmcnt(0)
	v_add_f64 v[176:177], v[4:5], -v[253:254]
	buffer_load_dword v4, off, s[64:67], 0 offset:184 ; 4-byte Folded Reload
	buffer_load_dword v5, off, s[64:67], 0 offset:188 ; 4-byte Folded Reload
	s_nop 0
	buffer_store_dword v56, off, s[64:67], 0 offset:184 ; 4-byte Folded Spill
	s_nop 0
	buffer_store_dword v57, off, s[64:67], 0 offset:188 ; 4-byte Folded Spill
	buffer_store_dword v58, off, s[64:67], 0 offset:192 ; 4-byte Folded Spill
	;; [unrolled: 1-line block ×3, first 2 shown]
	v_mov_b32_e32 v59, v9
	v_mov_b32_e32 v58, v8
	;; [unrolled: 1-line block ×4, first 2 shown]
	buffer_load_dword v8, off, s[64:67], 0 offset:248 ; 4-byte Folded Reload
	buffer_load_dword v9, off, s[64:67], 0 offset:252 ; 4-byte Folded Reload
	v_mul_f64 v[253:254], v[209:210], s[56:57]
	v_add_f64 v[26:27], v[178:179], v[30:31]
	v_mul_f64 v[34:35], v[189:190], s[10:11]
	v_mul_f64 v[30:31], v[197:198], s[22:23]
	v_mul_f64 v[6:7], v[203:204], s[30:31]
	v_add_f64 v[18:19], v[18:19], v[26:27]
	v_mul_f64 v[26:27], v[209:210], s[46:47]
	v_add_f64 v[30:31], v[30:31], v[186:187]
	v_add_f64 v[6:7], v[201:202], -v[6:7]
	v_mul_f64 v[186:187], v[221:222], s[34:35]
	v_mul_f64 v[201:202], v[231:232], s[60:61]
	s_waitcnt vmcnt(6)
	v_add_f64 v[184:185], v[4:5], -v[184:185]
	v_mul_f64 v[4:5], v[197:198], s[26:27]
	s_waitcnt vmcnt(0)
	v_add_f64 v[178:179], v[8:9], -v[253:254]
	buffer_load_dword v8, off, s[64:67], 0 offset:384 ; 4-byte Folded Reload
	buffer_load_dword v9, off, s[64:67], 0 offset:388 ; 4-byte Folded Reload
	;; [unrolled: 1-line block ×4, first 2 shown]
	v_add_f64 v[32:33], v[184:185], v[32:33]
	v_mul_f64 v[184:185], v[245:246], s[58:59]
	v_mul_f64 v[253:254], v[205:206], s[10:11]
	v_add_f64 v[32:33], v[178:179], v[32:33]
	v_mul_f64 v[178:179], v[213:214], s[34:35]
	v_add_f64 v[10:11], v[180:181], -v[184:185]
	v_mul_f64 v[180:181], v[221:222], s[26:27]
	v_mul_f64 v[184:185], v[217:218], s[52:53]
	v_add_f64 v[32:33], v[176:177], v[32:33]
	v_mul_f64 v[176:177], v[227:228], s[36:37]
	s_waitcnt vmcnt(2)
	v_add_f64 v[34:35], v[34:35], v[8:9]
	s_waitcnt vmcnt(0)
	v_add_f64 v[24:25], v[12:13], -v[24:25]
	buffer_load_dword v12, off, s[64:67], 0 offset:232 ; 4-byte Folded Reload
	buffer_load_dword v13, off, s[64:67], 0 offset:236 ; 4-byte Folded Reload
	v_mul_f64 v[8:9], v[213:214], s[38:39]
	v_add_f64 v[34:35], v[112:113], v[34:35]
	v_add_f64 v[24:25], v[24:25], v[32:33]
	v_mul_f64 v[32:33], v[237:238], s[8:9]
	v_add_f64 v[30:31], v[30:31], v[34:35]
	v_add_f64 v[10:11], v[10:11], v[24:25]
	v_mul_f64 v[34:35], v[245:246], s[28:29]
	s_waitcnt vmcnt(0)
	v_add_f64 v[182:183], v[182:183], v[12:13]
	buffer_load_dword v12, off, s[64:67], 0 offset:360 ; 4-byte Folded Reload
	buffer_load_dword v13, off, s[64:67], 0 offset:364 ; 4-byte Folded Reload
	v_add_f64 v[30:31], v[182:183], v[30:31]
	v_mul_f64 v[182:183], v[225:226], s[38:39]
	s_waitcnt vmcnt(0)
	v_add_f64 v[28:29], v[12:13], -v[28:29]
	buffer_load_dword v12, off, s[64:67], 0 offset:280 ; 4-byte Folded Reload
	buffer_load_dword v13, off, s[64:67], 0 offset:284 ; 4-byte Folded Reload
	;; [unrolled: 1-line block ×6, first 2 shown]
	s_nop 0
	buffer_store_dword v86, off, s[64:67], 0 offset:200 ; 4-byte Folded Spill
	s_nop 0
	buffer_store_dword v87, off, s[64:67], 0 offset:204 ; 4-byte Folded Spill
	buffer_store_dword v88, off, s[64:67], 0 offset:208 ; 4-byte Folded Spill
	;; [unrolled: 1-line block ×4, first 2 shown]
	s_nop 0
	buffer_store_dword v83, off, s[64:67], 0 offset:236 ; 4-byte Folded Spill
	buffer_store_dword v84, off, s[64:67], 0 offset:240 ; 4-byte Folded Spill
	;; [unrolled: 1-line block ×3, first 2 shown]
	v_mov_b32_e32 v91, v81
	v_mov_b32_e32 v90, v80
	;; [unrolled: 1-line block ×3, first 2 shown]
	v_add_f64 v[28:29], v[114:115], v[28:29]
	v_mov_b32_e32 v88, v78
	v_mov_b32_e32 v87, v77
	;; [unrolled: 1-line block ×7, first 2 shown]
	v_add_f64 v[6:7], v[6:7], v[28:29]
	v_mov_b32_e32 v81, v71
	v_mov_b32_e32 v80, v70
	;; [unrolled: 1-line block ×6, first 2 shown]
	buffer_load_dword v38, off, s[64:67], 0 offset:424 ; 4-byte Folded Reload
	buffer_load_dword v39, off, s[64:67], 0 offset:428 ; 4-byte Folded Reload
	v_mul_f64 v[36:37], v[241:242], s[18:19]
	v_mul_f64 v[28:29], v[249:250], s[56:57]
	v_mov_b32_e32 v79, v69
	v_mov_b32_e32 v78, v68
	;; [unrolled: 1-line block ×8, first 2 shown]
	s_waitcnt vmcnt(14)
	v_add_f64 v[178:179], v[178:179], v[12:13]
	s_waitcnt vmcnt(12)
	v_add_f64 v[180:181], v[180:181], v[14:15]
	s_waitcnt vmcnt(10)
	v_add_f64 v[26:27], v[16:17], -v[26:27]
	v_mul_f64 v[14:15], v[231:232], s[40:41]
	v_mul_f64 v[12:13], v[225:226], s[18:19]
	;; [unrolled: 1-line block ×3, first 2 shown]
	v_add_f64 v[30:31], v[178:179], v[30:31]
	v_add_f64 v[178:179], v[22:23], v[2:3]
	buffer_load_dword v2, off, s[64:67], 0 offset:264 ; 4-byte Folded Reload
	buffer_load_dword v3, off, s[64:67], 0 offset:268 ; 4-byte Folded Reload
	;; [unrolled: 1-line block ×4, first 2 shown]
	v_add_f64 v[6:7], v[26:27], v[6:7]
	buffer_load_dword v26, off, s[64:67], 0 offset:464 ; 4-byte Folded Reload
	buffer_load_dword v27, off, s[64:67], 0 offset:468 ; 4-byte Folded Reload
	;; [unrolled: 1-line block ×4, first 2 shown]
	v_add_f64 v[16:17], v[16:17], v[191:192]
	v_mov_b32_e32 v192, v51
	v_mov_b32_e32 v191, v50
	s_waitcnt vmcnt(8)
	v_add_f64 v[32:33], v[32:33], v[38:39]
	v_mul_f64 v[38:39], v[249:250], s[24:25]
	s_waitcnt vmcnt(6)
	v_add_f64 v[2:3], v[2:3], -v[184:185]
	s_waitcnt vmcnt(4)
	v_add_f64 v[0:1], v[0:1], v[22:23]
	v_add_f64 v[22:23], v[180:181], v[30:31]
	s_waitcnt vmcnt(2)
	v_add_f64 v[14:15], v[26:27], -v[14:15]
	buffer_load_dword v26, off, s[64:67], 0 offset:328 ; 4-byte Folded Reload
	buffer_load_dword v27, off, s[64:67], 0 offset:332 ; 4-byte Folded Reload
	;; [unrolled: 1-line block ×4, first 2 shown]
	s_waitcnt vmcnt(4)
	v_add_f64 v[24:25], v[182:183], v[24:25]
	v_add_f64 v[2:3], v[2:3], v[6:7]
	;; [unrolled: 1-line block ×4, first 2 shown]
	v_add_f64 v[22:23], v[44:45], -v[38:39]
	v_add_f64 v[10:11], v[14:15], v[10:11]
	v_add_f64 v[14:15], v[36:37], v[100:101]
	;; [unrolled: 1-line block ×3, first 2 shown]
	s_waitcnt vmcnt(2)
	v_add_f64 v[26:27], v[26:27], -v[176:177]
	s_waitcnt vmcnt(0)
	v_add_f64 v[4:5], v[4:5], v[30:31]
	buffer_load_dword v30, off, s[64:67], 0 offset:416 ; 4-byte Folded Reload
	buffer_load_dword v31, off, s[64:67], 0 offset:420 ; 4-byte Folded Reload
	;; [unrolled: 1-line block ×4, first 2 shown]
	v_add_f64 v[176:177], v[20:21], v[18:19]
	v_mul_f64 v[18:19], v[48:49], s[36:37]
	v_mul_f64 v[20:21], v[203:204], s[24:25]
	v_add_f64 v[2:3], v[26:27], v[2:3]
	v_add_f64 v[0:1], v[4:5], v[0:1]
	;; [unrolled: 1-line block ×3, first 2 shown]
	buffer_load_dword v6, off, s[64:67], 0 offset:448 ; 4-byte Folded Reload
	buffer_load_dword v7, off, s[64:67], 0 offset:452 ; 4-byte Folded Reload
	buffer_load_dword v10, off, s[64:67], 0 offset:256 ; 4-byte Folded Reload
	buffer_load_dword v11, off, s[64:67], 0 offset:260 ; 4-byte Folded Reload
	v_fma_f64 v[24:25], v[189:190], s[34:35], -v[18:19]
	v_mul_f64 v[26:27], v[209:210], s[48:49]
	v_add_f64 v[180:181], v[14:15], v[4:5]
	buffer_load_dword v14, off, s[64:67], 0 offset:312 ; 4-byte Folded Reload
	buffer_load_dword v15, off, s[64:67], 0 offset:316 ; 4-byte Folded Reload
	v_add_f64 v[4:5], v[102:103], -v[28:29]
	v_fma_f64 v[28:29], v[199:200], s[18:19], v[20:21]
	v_add_f64 v[24:25], v[112:113], v[24:25]
	v_fma_f64 v[20:21], v[199:200], s[18:19], -v[20:21]
	s_waitcnt vmcnt(8)
	v_add_f64 v[30:31], v[30:31], -v[34:35]
	s_waitcnt vmcnt(6)
	v_add_f64 v[32:33], v[253:254], v[32:33]
	v_fma_f64 v[34:35], v[207:208], s[26:27], v[26:27]
	v_fma_f64 v[26:27], v[207:208], s[26:27], -v[26:27]
	v_add_f64 v[2:3], v[30:31], v[2:3]
	v_add_f64 v[0:1], v[32:33], v[0:1]
	s_waitcnt vmcnt(2)
	v_add_f64 v[8:9], v[8:9], v[10:11]
	v_add_f64 v[6:7], v[6:7], -v[201:202]
	v_mul_f64 v[10:11], v[195:196], s[36:37]
	v_mul_f64 v[30:31], v[211:212], s[48:49]
	;; [unrolled: 1-line block ×3, first 2 shown]
	s_waitcnt vmcnt(0)
	v_add_f64 v[14:15], v[186:187], v[14:15]
	v_add_f64 v[0:1], v[8:9], v[0:1]
	v_add_f64 v[2:3], v[6:7], v[2:3]
	buffer_load_dword v6, off, s[64:67], 0 offset:376 ; 4-byte Folded Reload
	buffer_load_dword v7, off, s[64:67], 0 offset:380 ; 4-byte Folded Reload
	v_fma_f64 v[22:23], v[60:61], s[34:35], v[10:11]
	v_mul_f64 v[8:9], v[50:51], s[24:25]
	v_fma_f64 v[10:11], v[60:61], s[34:35], -v[10:11]
	v_fma_f64 v[36:37], v[215:216], s[10:11], v[32:33]
	v_fma_f64 v[32:33], v[215:216], s[10:11], -v[32:33]
	v_add_f64 v[0:1], v[14:15], v[0:1]
	buffer_load_dword v14, off, s[64:67], 0 offset:432 ; 4-byte Folded Reload
	buffer_load_dword v15, off, s[64:67], 0 offset:436 ; 4-byte Folded Reload
	v_add_f64 v[22:23], v[114:115], v[22:23]
	v_add_f64 v[10:11], v[114:115], v[10:11]
	;; [unrolled: 1-line block ×3, first 2 shown]
	v_fma_f64 v[28:29], v[205:206], s[26:27], -v[30:31]
	v_add_f64 v[10:11], v[20:21], v[10:11]
	v_mul_f64 v[20:21], v[231:232], s[16:17]
	v_add_f64 v[22:23], v[34:35], v[22:23]
	v_mul_f64 v[34:35], v[233:234], s[56:57]
	;; [unrolled: 2-line block ×4, first 2 shown]
	v_fma_f64 v[186:187], v[221:222], s[44:45], -v[34:35]
	v_add_f64 v[10:11], v[32:33], v[10:11]
	v_fma_f64 v[32:33], v[243:244], s[22:23], v[26:27]
	s_waitcnt vmcnt(2)
	v_add_f64 v[6:7], v[193:194], v[6:7]
	v_mul_f64 v[193:194], v[235:236], s[16:17]
	s_waitcnt vmcnt(0)
	v_add_f64 v[12:13], v[12:13], v[14:15]
	v_fma_f64 v[14:15], v[197:198], s[18:19], -v[8:9]
	v_add_f64 v[0:1], v[6:7], v[0:1]
	v_mul_f64 v[6:7], v[219:220], s[46:47]
	v_fma_f64 v[201:202], v[225:226], s[8:9], -v[193:194]
	v_fma_f64 v[8:9], v[197:198], s[18:19], v[8:9]
	v_add_f64 v[14:15], v[14:15], v[24:25]
	v_mul_f64 v[24:25], v[227:228], s[56:57]
	v_fma_f64 v[38:39], v[213:214], s[10:11], -v[6:7]
	v_add_f64 v[0:1], v[12:13], v[0:1]
	v_fma_f64 v[6:7], v[213:214], s[10:11], v[6:7]
	v_add_f64 v[14:15], v[28:29], v[14:15]
	v_mul_f64 v[28:29], v[245:246], s[40:41]
	v_fma_f64 v[184:185], v[223:224], s[44:45], v[24:25]
	v_fma_f64 v[24:25], v[223:224], s[44:45], -v[24:25]
	v_add_f64 v[12:13], v[16:17], v[0:1]
	v_fma_f64 v[0:1], v[189:190], s[34:35], v[18:19]
	v_fma_f64 v[16:17], v[243:244], s[22:23], -v[26:27]
	v_add_f64 v[14:15], v[38:39], v[14:15]
	v_fma_f64 v[38:39], v[239:240], s[38:39], v[28:29]
	v_add_f64 v[22:23], v[184:185], v[22:23]
	v_fma_f64 v[184:185], v[237:238], s[38:39], -v[36:37]
	v_fma_f64 v[28:29], v[239:240], s[38:39], -v[28:29]
	v_add_f64 v[10:11], v[24:25], v[10:11]
	v_add_f64 v[0:1], v[112:113], v[0:1]
	v_fma_f64 v[36:37], v[237:238], s[38:39], v[36:37]
	v_add_f64 v[14:15], v[186:187], v[14:15]
	v_fma_f64 v[186:187], v[229:230], s[8:9], v[20:21]
	v_add_f64 v[22:23], v[38:39], v[22:23]
	v_mul_f64 v[38:39], v[247:248], s[28:29]
	v_add_f64 v[10:11], v[28:29], v[10:11]
	v_add_f64 v[0:1], v[8:9], v[0:1]
	v_mul_f64 v[8:9], v[209:210], s[24:25]
	v_add_f64 v[14:15], v[184:185], v[14:15]
	v_add_f64 v[22:23], v[186:187], v[22:23]
	v_fma_f64 v[184:185], v[241:242], s[22:23], -v[38:39]
	v_fma_f64 v[38:39], v[241:242], s[22:23], v[38:39]
	v_add_f64 v[24:25], v[201:202], v[14:15]
	v_add_f64 v[14:15], v[4:5], v[2:3]
	v_mul_f64 v[4:5], v[195:196], s[54:55]
	v_add_f64 v[186:187], v[32:33], v[22:23]
	v_fma_f64 v[2:3], v[229:230], s[8:9], -v[20:21]
	v_mul_f64 v[20:21], v[48:49], s[54:55]
	v_mul_f64 v[22:23], v[203:204], s[16:17]
	v_fma_f64 v[201:202], v[207:208], s[18:19], v[8:9]
	v_add_f64 v[184:185], v[184:185], v[24:25]
	v_mul_f64 v[24:25], v[50:51], s[16:17]
	v_fma_f64 v[18:19], v[60:61], s[44:45], v[4:5]
	v_fma_f64 v[4:5], v[60:61], s[44:45], -v[4:5]
	v_add_f64 v[2:3], v[2:3], v[10:11]
	v_fma_f64 v[10:11], v[205:206], s[26:27], v[30:31]
	v_fma_f64 v[26:27], v[189:190], s[44:45], -v[20:21]
	v_fma_f64 v[28:29], v[199:200], s[8:9], v[22:23]
	v_mul_f64 v[30:31], v[211:212], s[24:25]
	v_fma_f64 v[32:33], v[197:198], s[8:9], -v[24:25]
	v_add_f64 v[18:19], v[114:115], v[18:19]
	v_add_f64 v[4:5], v[114:115], v[4:5]
	v_fma_f64 v[8:9], v[207:208], s[18:19], -v[8:9]
	v_add_f64 v[0:1], v[10:11], v[0:1]
	v_add_f64 v[26:27], v[112:113], v[26:27]
	v_mul_f64 v[10:11], v[217:218], s[30:31]
	v_fma_f64 v[253:254], v[205:206], s[18:19], -v[30:31]
	v_mov_b32_e32 v51, v49
	v_add_f64 v[18:19], v[28:29], v[18:19]
	v_fma_f64 v[28:29], v[221:222], s[44:45], v[34:35]
	v_mul_f64 v[34:35], v[219:220], s[30:31]
	v_add_f64 v[0:1], v[6:7], v[0:1]
	v_add_f64 v[26:27], v[32:33], v[26:27]
	v_mul_f64 v[6:7], v[227:228], s[42:43]
	v_fma_f64 v[32:33], v[215:216], s[26:27], v[10:11]
	v_fma_f64 v[10:11], v[215:216], s[26:27], -v[10:11]
	v_add_f64 v[18:19], v[201:202], v[18:19]
	v_mul_f64 v[201:202], v[233:234], s[42:43]
	v_fma_f64 v[40:41], v[213:214], s[26:27], -v[34:35]
	v_add_f64 v[0:1], v[28:29], v[0:1]
	v_add_f64 v[26:27], v[253:254], v[26:27]
	v_mul_f64 v[28:29], v[245:246], s[46:47]
	v_fma_f64 v[42:43], v[223:224], s[22:23], v[6:7]
	v_fma_f64 v[6:7], v[223:224], s[22:23], -v[6:7]
	v_add_f64 v[18:19], v[32:33], v[18:19]
	v_fma_f64 v[32:33], v[225:226], s[8:9], v[193:194]
	v_mul_f64 v[193:194], v[251:252], s[46:47]
	v_add_f64 v[0:1], v[36:37], v[0:1]
	v_add_f64 v[26:27], v[40:41], v[26:27]
	v_fma_f64 v[40:41], v[239:240], s[10:11], v[28:29]
	v_mul_f64 v[36:37], v[231:232], s[50:51]
	v_fma_f64 v[253:254], v[221:222], s[22:23], -v[201:202]
	v_add_f64 v[18:19], v[42:43], v[18:19]
	v_mov_b32_e32 v50, v48
	v_fma_f64 v[44:45], v[237:238], s[10:11], -v[193:194]
	v_add_f64 v[0:1], v[32:33], v[0:1]
	v_mul_f64 v[32:33], v[249:250], s[52:53]
	v_mul_f64 v[50:51], v[50:51], s[40:41]
	v_fma_f64 v[46:47], v[229:230], s[34:35], v[36:37]
	v_add_f64 v[26:27], v[253:254], v[26:27]
	v_add_f64 v[40:41], v[40:41], v[18:19]
	v_add_f64 v[18:19], v[16:17], v[2:3]
	v_fma_f64 v[2:3], v[199:200], s[8:9], -v[22:23]
	v_add_f64 v[16:17], v[38:39], v[0:1]
	v_fma_f64 v[0:1], v[243:244], s[38:39], v[32:33]
	v_fma_f64 v[22:23], v[243:244], s[38:39], -v[32:33]
	v_fma_f64 v[32:33], v[229:230], s[34:35], -v[36:37]
	v_mul_f64 v[36:37], v[195:196], s[40:41]
	v_add_f64 v[38:39], v[46:47], v[40:41]
	v_add_f64 v[46:47], v[112:113], v[116:117]
	;; [unrolled: 1-line block ×3, first 2 shown]
	v_fma_f64 v[4:5], v[239:240], s[10:11], -v[28:29]
	v_add_f64 v[26:27], v[44:45], v[26:27]
	v_fma_f64 v[20:21], v[189:190], s[44:45], v[20:21]
	v_mul_f64 v[42:43], v[235:236], s[50:51]
	v_fma_f64 v[44:45], v[60:61], s[38:39], v[36:37]
	v_fma_f64 v[36:37], v[60:61], s[38:39], -v[36:37]
	v_fma_f64 v[24:25], v[197:198], s[8:9], v[24:25]
	v_add_f64 v[2:3], v[8:9], v[2:3]
	v_fma_f64 v[8:9], v[205:206], s[18:19], v[30:31]
	v_add_f64 v[30:31], v[114:115], v[118:119]
	v_add_f64 v[20:21], v[112:113], v[20:21]
	v_fma_f64 v[48:49], v[225:226], s[34:35], -v[42:43]
	v_add_f64 v[44:45], v[114:115], v[44:45]
	v_add_f64 v[36:37], v[114:115], v[36:37]
	v_mul_f64 v[28:29], v[203:204], s[54:55]
	v_add_f64 v[2:3], v[10:11], v[2:3]
	v_fma_f64 v[10:11], v[213:214], s[26:27], v[34:35]
	v_add_f64 v[30:31], v[30:31], v[122:123]
	v_add_f64 v[34:35], v[46:47], v[120:121]
	v_mul_f64 v[122:123], v[191:192], s[54:55]
	v_add_f64 v[26:27], v[48:49], v[26:27]
	v_add_f64 v[20:21], v[24:25], v[20:21]
	v_mul_f64 v[24:25], v[209:210], s[36:37]
	v_add_f64 v[2:3], v[6:7], v[2:3]
	v_fma_f64 v[48:49], v[199:200], s[44:45], v[28:29]
	v_add_f64 v[30:31], v[30:31], v[126:127]
	v_add_f64 v[34:35], v[34:35], v[124:125]
	v_fma_f64 v[124:125], v[189:190], s[38:39], v[50:51]
	v_fma_f64 v[50:51], v[189:190], s[38:39], -v[50:51]
	v_fma_f64 v[114:115], v[197:198], s[44:45], v[122:123]
	v_mul_f64 v[126:127], v[211:212], s[36:37]
	v_add_f64 v[2:3], v[4:5], v[2:3]
	v_fma_f64 v[4:5], v[237:238], s[10:11], v[193:194]
	v_add_f64 v[30:31], v[30:31], v[134:135]
	v_add_f64 v[34:35], v[34:35], v[132:133]
	buffer_load_dword v194, off, s[64:67], 0 offset:8 ; 4-byte Folded Reload
	v_add_f64 v[50:51], v[112:113], v[50:51]
	v_fma_f64 v[28:29], v[199:200], s[44:45], -v[28:29]
	v_add_f64 v[8:9], v[8:9], v[20:21]
	v_add_f64 v[2:3], v[32:33], v[2:3]
	v_mul_f64 v[20:21], v[217:218], s[16:17]
	v_add_f64 v[30:31], v[30:31], v[142:143]
	v_add_f64 v[34:35], v[34:35], v[140:141]
	v_fma_f64 v[46:47], v[207:208], s[34:35], v[24:25]
	v_add_f64 v[44:45], v[48:49], v[44:45]
	v_mul_f64 v[120:121], v[219:220], s[16:17]
	v_fma_f64 v[24:25], v[207:208], s[34:35], -v[24:25]
	v_add_f64 v[22:23], v[22:23], v[2:3]
	v_add_f64 v[28:29], v[28:29], v[36:37]
	;; [unrolled: 1-line block ×4, first 2 shown]
	v_fma_f64 v[36:37], v[205:206], s[34:35], v[126:127]
	v_fma_f64 v[6:7], v[221:222], s[22:23], v[201:202]
	v_add_f64 v[8:9], v[10:11], v[8:9]
	v_mul_f64 v[10:11], v[227:228], s[20:21]
	v_fma_f64 v[48:49], v[215:216], s[8:9], v[20:21]
	v_add_f64 v[44:45], v[46:47], v[44:45]
	v_add_f64 v[2:3], v[2:3], v[146:147]
	v_add_f64 v[30:31], v[30:31], v[144:145]
	v_mul_f64 v[118:119], v[233:234], s[20:21]
	v_fma_f64 v[20:21], v[215:216], s[8:9], -v[20:21]
	v_add_f64 v[24:25], v[24:25], v[28:29]
	v_fma_f64 v[28:29], v[213:214], s[8:9], v[120:121]
	v_add_f64 v[6:7], v[6:7], v[8:9]
	v_mul_f64 v[8:9], v[245:246], s[24:25]
	v_add_f64 v[2:3], v[2:3], v[130:131]
	v_add_f64 v[30:31], v[30:31], v[128:129]
	v_fma_f64 v[46:47], v[223:224], s[10:11], v[10:11]
	v_add_f64 v[44:45], v[48:49], v[44:45]
	v_mul_f64 v[116:117], v[251:252], s[24:25]
	v_fma_f64 v[10:11], v[223:224], s[10:11], -v[10:11]
	v_add_f64 v[20:21], v[20:21], v[24:25]
	v_fma_f64 v[24:25], v[221:222], s[10:11], v[118:119]
	v_add_f64 v[2:3], v[2:3], v[94:95]
	v_add_f64 v[30:31], v[30:31], v[92:93]
	;; [unrolled: 1-line block ×3, first 2 shown]
	v_fma_f64 v[94:95], v[197:198], s[44:45], -v[122:123]
	v_fma_f64 v[32:33], v[225:226], s[34:35], v[42:43]
	v_add_f64 v[4:5], v[4:5], v[6:7]
	v_mul_f64 v[6:7], v[231:232], s[28:29]
	v_fma_f64 v[42:43], v[239:240], s[18:19], v[8:9]
	v_add_f64 v[2:3], v[2:3], v[98:99]
	v_add_f64 v[30:31], v[30:31], v[96:97]
	;; [unrolled: 1-line block ×3, first 2 shown]
	buffer_load_dword v112, off, s[64:67], 0 offset:296 ; 4-byte Folded Reload
	buffer_load_dword v113, off, s[64:67], 0 offset:300 ; 4-byte Folded Reload
	;; [unrolled: 1-line block ×4, first 2 shown]
	v_fma_f64 v[96:97], v[205:206], s[34:35], -v[126:127]
	v_add_f64 v[50:51], v[94:95], v[50:51]
	v_add_f64 v[44:45], v[46:47], v[44:45]
	v_mul_f64 v[48:49], v[235:236], s[28:29]
	v_fma_f64 v[8:9], v[239:240], s[18:19], -v[8:9]
	v_add_f64 v[10:11], v[10:11], v[20:21]
	v_add_f64 v[36:37], v[36:37], v[92:93]
	v_fma_f64 v[92:93], v[213:214], s[8:9], -v[120:121]
	v_fma_f64 v[20:21], v[237:238], s[18:19], v[116:117]
	v_add_f64 v[50:51], v[96:97], v[50:51]
	v_mul_f64 v[253:254], v[247:248], s[52:53]
	v_add_f64 v[32:33], v[32:33], v[4:5]
	v_mul_f64 v[4:5], v[249:250], s[30:31]
	v_fma_f64 v[34:35], v[229:230], s[22:23], v[6:7]
	v_add_f64 v[28:29], v[28:29], v[36:37]
	v_fma_f64 v[36:37], v[221:222], s[10:11], -v[118:119]
	v_add_f64 v[42:43], v[42:43], v[44:45]
	v_add_f64 v[50:51], v[92:93], v[50:51]
	v_mul_f64 v[44:45], v[247:248], s[30:31]
	v_fma_f64 v[6:7], v[229:230], s[22:23], -v[6:7]
	v_add_f64 v[8:9], v[8:9], v[10:11]
	v_fma_f64 v[40:41], v[241:242], s[38:39], -v[253:254]
	v_add_f64 v[24:25], v[24:25], v[28:29]
	;; [unrolled: 2-line block ×3, first 2 shown]
	v_add_f64 v[36:37], v[36:37], v[50:51]
	v_fma_f64 v[42:43], v[241:242], s[26:27], -v[44:45]
	v_fma_f64 v[50:51], v[243:244], s[26:27], v[4:5]
	v_add_f64 v[6:7], v[6:7], v[8:9]
	v_add_f64 v[94:95], v[0:1], v[38:39]
	;; [unrolled: 1-line block ×3, first 2 shown]
	v_fma_f64 v[24:25], v[225:226], s[22:23], -v[48:49]
	v_add_f64 v[92:93], v[40:41], v[26:27]
	v_add_f64 v[28:29], v[28:29], v[36:37]
	v_fma_f64 v[36:37], v[243:244], s[26:27], -v[4:5]
	v_fma_f64 v[10:11], v[225:226], s[22:23], v[48:49]
	v_fma_f64 v[48:49], v[241:242], s[26:27], v[44:45]
	;; [unrolled: 1-line block ×3, first 2 shown]
	v_add_f64 v[98:99], v[50:51], v[34:35]
	v_add_f64 v[24:25], v[24:25], v[28:29]
	;; [unrolled: 1-line block ×3, first 2 shown]
	v_mov_b32_e32 v36, v72
	v_mov_b32_e32 v37, v73
	;; [unrolled: 1-line block ×4, first 2 shown]
	v_add_f64 v[10:11], v[10:11], v[20:21]
	v_add_f64 v[20:21], v[46:47], v[32:33]
	;; [unrolled: 1-line block ×3, first 2 shown]
	v_mov_b32_e32 v40, v68
	v_mov_b32_e32 v41, v69
	;; [unrolled: 1-line block ×20, first 2 shown]
	s_waitcnt vmcnt(0)
	v_add_f64 v[2:3], v[2:3], v[114:115]
	v_add_f64 v[30:31], v[30:31], v[112:113]
	;; [unrolled: 1-line block ×10, first 2 shown]
	buffer_load_dword v56, off, s[64:67], 0 offset:184 ; 4-byte Folded Reload
	buffer_load_dword v57, off, s[64:67], 0 offset:188 ; 4-byte Folded Reload
	;; [unrolled: 1-line block ×4, first 2 shown]
	v_add_f64 v[8:9], v[2:3], v[54:55]
	v_add_f64 v[6:7], v[30:31], v[52:53]
	buffer_load_dword v52, off, s[64:67], 0 offset:216 ; 4-byte Folded Reload
	buffer_load_dword v53, off, s[64:67], 0 offset:220 ; 4-byte Folded Reload
	;; [unrolled: 1-line block ×13, first 2 shown]
	v_add_f64 v[2:3], v[48:49], v[10:11]
	s_waitcnt vmcnt(0)
	v_lshlrev_b32_e32 v0, 4, v0
	ds_write_b128 v0, v[6:9]
	ds_write_b128 v0, v[2:5] offset:16
	ds_write_b128 v0, v[20:23] offset:32
	ds_write_b128 v0, v[16:19] offset:48
	ds_write_b128 v0, v[12:15] offset:64
	ds_write_b128 v0, v[180:183] offset:80
	ds_write_b128 v0, v[176:179] offset:96
	ds_write_b128 v0, v[160:163] offset:112
	ds_write_b128 v0, v[168:171] offset:128
	ds_write_b128 v0, v[172:175] offset:144
	ds_write_b128 v0, v[164:167] offset:160
	ds_write_b128 v0, v[156:159] offset:176
	ds_write_b128 v0, v[152:155] offset:192
	ds_write_b128 v0, v[148:151] offset:208
	ds_write_b128 v0, v[184:187] offset:224
	ds_write_b128 v0, v[92:95] offset:240
	ds_write_b128 v0, v[96:99] offset:256
.LBB0_17:
	s_or_b64 exec, exec, s[62:63]
	s_waitcnt lgkmcnt(0)
	s_barrier
	ds_read_b128 v[0:3], v255
	ds_read_b128 v[104:107], v255 offset:2448
	ds_read_b128 v[100:103], v255 offset:4896
	;; [unrolled: 1-line block ×6, first 2 shown]
	s_and_saveexec_b64 s[8:9], s[2:3]
	s_cbranch_execz .LBB0_19
; %bb.18:
	ds_read_b128 v[160:163], v255 offset:1904
	ds_read_b128 v[168:171], v255 offset:4352
	;; [unrolled: 1-line block ×7, first 2 shown]
.LBB0_19:
	s_or_b64 exec, exec, s[8:9]
	buffer_load_dword v26, off, s[64:67], 0 offset:28 ; 4-byte Folded Reload
	buffer_load_dword v27, off, s[64:67], 0 offset:32 ; 4-byte Folded Reload
	;; [unrolled: 1-line block ×12, first 2 shown]
	s_waitcnt lgkmcnt(2)
	v_mul_f64 v[32:33], v[38:39], v[6:7]
	v_mul_f64 v[34:35], v[38:39], v[4:5]
	s_mov_b32 s18, 0x37e14327
	s_mov_b32 s10, 0x36b3c0b5
	;; [unrolled: 1-line block ×6, first 2 shown]
	v_fma_f64 v[4:5], v[36:37], v[4:5], v[32:33]
	v_fma_f64 v[6:7], v[36:37], v[6:7], -v[34:35]
	s_mov_b32 s8, 0x429ad128
	s_mov_b32 s9, 0xbfebfeb5
	;; [unrolled: 1-line block ×14, first 2 shown]
	s_waitcnt vmcnt(8)
	v_mul_f64 v[12:13], v[28:29], v[106:107]
	s_waitcnt vmcnt(4)
	v_mul_f64 v[16:17], v[24:25], v[102:103]
	v_mul_f64 v[18:19], v[24:25], v[100:101]
	s_waitcnt vmcnt(0) lgkmcnt(0)
	v_mul_f64 v[20:21], v[62:63], v[98:99]
	v_mul_f64 v[14:15], v[28:29], v[104:105]
	;; [unrolled: 1-line block ×3, first 2 shown]
	v_fma_f64 v[12:13], v[26:27], v[104:105], v[12:13]
	v_fma_f64 v[16:17], v[22:23], v[100:101], v[16:17]
	v_fma_f64 v[18:19], v[22:23], v[102:103], -v[18:19]
	v_mul_f64 v[22:23], v[62:63], v[96:97]
	buffer_load_dword v62, off, s[64:67], 0 offset:60 ; 4-byte Folded Reload
	buffer_load_dword v63, off, s[64:67], 0 offset:64 ; 4-byte Folded Reload
	;; [unrolled: 1-line block ×4, first 2 shown]
	v_fma_f64 v[14:15], v[26:27], v[106:107], -v[14:15]
	v_mul_f64 v[26:27], v[42:43], v[8:9]
	v_fma_f64 v[20:21], v[60:61], v[96:97], v[20:21]
	v_fma_f64 v[8:9], v[40:41], v[8:9], v[24:25]
	s_waitcnt vmcnt(0)
	s_barrier
	v_fma_f64 v[22:23], v[60:61], v[98:99], -v[22:23]
	v_fma_f64 v[10:11], v[40:41], v[10:11], -v[26:27]
	v_mul_f64 v[28:29], v[64:65], v[94:95]
	v_mul_f64 v[30:31], v[64:65], v[92:93]
	v_fma_f64 v[24:25], v[62:63], v[92:93], v[28:29]
	v_fma_f64 v[26:27], v[62:63], v[94:95], -v[30:31]
	v_add_f64 v[28:29], v[12:13], v[20:21]
	v_add_f64 v[30:31], v[14:15], v[22:23]
	v_add_f64 v[12:13], v[12:13], -v[20:21]
	v_add_f64 v[14:15], v[14:15], -v[22:23]
	v_add_f64 v[20:21], v[16:17], v[24:25]
	v_add_f64 v[22:23], v[18:19], v[26:27]
	v_add_f64 v[16:17], v[16:17], -v[24:25]
	v_add_f64 v[18:19], v[18:19], -v[26:27]
	;; [unrolled: 4-line block ×4, first 2 shown]
	v_add_f64 v[28:29], v[28:29], -v[24:25]
	v_add_f64 v[30:31], v[30:31], -v[26:27]
	;; [unrolled: 1-line block ×4, first 2 shown]
	v_add_f64 v[36:37], v[4:5], v[16:17]
	v_add_f64 v[38:39], v[6:7], v[18:19]
	v_add_f64 v[40:41], v[4:5], -v[16:17]
	v_add_f64 v[42:43], v[6:7], -v[18:19]
	v_add_f64 v[8:9], v[24:25], v[8:9]
	v_add_f64 v[10:11], v[26:27], v[10:11]
	v_add_f64 v[16:17], v[16:17], -v[12:13]
	v_add_f64 v[18:19], v[18:19], -v[14:15]
	v_add_f64 v[4:5], v[12:13], -v[4:5]
	v_add_f64 v[6:7], v[14:15], -v[6:7]
	v_add_f64 v[12:13], v[36:37], v[12:13]
	v_add_f64 v[14:15], v[38:39], v[14:15]
	;; [unrolled: 1-line block ×4, first 2 shown]
	v_mul_f64 v[24:25], v[28:29], s[18:19]
	v_mul_f64 v[26:27], v[30:31], s[18:19]
	;; [unrolled: 1-line block ×8, first 2 shown]
	v_fma_f64 v[8:9], v[8:9], s[28:29], v[0:1]
	v_fma_f64 v[10:11], v[10:11], s[28:29], v[2:3]
	;; [unrolled: 1-line block ×4, first 2 shown]
	v_fma_f64 v[28:29], v[32:33], s[16:17], -v[28:29]
	v_fma_f64 v[30:31], v[34:35], s[16:17], -v[30:31]
	;; [unrolled: 1-line block ×4, first 2 shown]
	v_fma_f64 v[32:33], v[4:5], s[30:31], v[36:37]
	v_fma_f64 v[34:35], v[6:7], s[30:31], v[38:39]
	v_fma_f64 v[4:5], v[4:5], s[26:27], -v[40:41]
	v_fma_f64 v[6:7], v[6:7], s[26:27], -v[42:43]
	;; [unrolled: 1-line block ×4, first 2 shown]
	v_add_f64 v[36:37], v[20:21], v[8:9]
	v_add_f64 v[38:39], v[22:23], v[10:11]
	;; [unrolled: 1-line block ×4, first 2 shown]
	v_fma_f64 v[28:29], v[14:15], s[24:25], v[34:35]
	v_fma_f64 v[30:31], v[12:13], s[24:25], v[32:33]
	v_add_f64 v[24:25], v[24:25], v[8:9]
	v_add_f64 v[26:27], v[26:27], v[10:11]
	v_fma_f64 v[32:33], v[14:15], s[24:25], v[6:7]
	v_fma_f64 v[34:35], v[12:13], s[24:25], v[4:5]
	;; [unrolled: 1-line block ×4, first 2 shown]
	v_add_f64 v[4:5], v[28:29], v[36:37]
	v_add_f64 v[6:7], v[38:39], -v[30:31]
	v_add_f64 v[36:37], v[36:37], -v[28:29]
	v_add_f64 v[38:39], v[30:31], v[38:39]
	v_add_f64 v[8:9], v[32:33], v[24:25]
	v_add_f64 v[10:11], v[26:27], -v[34:35]
	v_add_f64 v[12:13], v[20:21], -v[18:19]
	v_add_f64 v[14:15], v[40:41], v[22:23]
	v_add_f64 v[16:17], v[18:19], v[20:21]
	v_add_f64 v[18:19], v[22:23], -v[40:41]
	v_add_f64 v[20:21], v[24:25], -v[32:33]
	v_add_f64 v[22:23], v[34:35], v[26:27]
	ds_write_b128 v188, v[0:3]
	ds_write_b128 v188, v[4:7] offset:272
	ds_write_b128 v188, v[8:11] offset:544
	ds_write_b128 v188, v[12:15] offset:816
	ds_write_b128 v188, v[16:19] offset:1088
	ds_write_b128 v188, v[20:23] offset:1360
	ds_write_b128 v188, v[36:39] offset:1632
	s_and_saveexec_b64 s[34:35], s[2:3]
	s_cbranch_execz .LBB0_21
; %bb.20:
	buffer_load_dword v24, off, s[64:67], 0 offset:144 ; 4-byte Folded Reload
	buffer_load_dword v25, off, s[64:67], 0 offset:148 ; 4-byte Folded Reload
	;; [unrolled: 1-line block ×16, first 2 shown]
	v_mul_f64 v[6:7], v[54:55], v[166:167]
	v_mul_f64 v[0:1], v[58:59], v[170:171]
	;; [unrolled: 1-line block ×3, first 2 shown]
	v_fma_f64 v[6:7], v[52:53], v[164:165], v[6:7]
	v_fma_f64 v[0:1], v[56:57], v[168:169], v[0:1]
	v_fma_f64 v[14:15], v[56:57], v[170:171], -v[14:15]
	s_waitcnt vmcnt(12)
	v_mul_f64 v[2:3], v[26:27], v[150:151]
	s_waitcnt vmcnt(8)
	v_mul_f64 v[4:5], v[34:35], v[158:159]
	;; [unrolled: 2-line block ×4, first 2 shown]
	v_mul_f64 v[12:13], v[26:27], v[148:149]
	v_mul_f64 v[16:17], v[30:31], v[152:153]
	;; [unrolled: 1-line block ×4, first 2 shown]
	v_fma_f64 v[2:3], v[24:25], v[148:149], v[2:3]
	v_fma_f64 v[4:5], v[32:33], v[156:157], v[4:5]
	;; [unrolled: 1-line block ×4, first 2 shown]
	v_fma_f64 v[12:13], v[24:25], v[150:151], -v[12:13]
	v_fma_f64 v[16:17], v[28:29], v[154:155], -v[16:17]
	;; [unrolled: 1-line block ×3, first 2 shown]
	v_mul_f64 v[20:21], v[54:55], v[164:165]
	v_fma_f64 v[22:23], v[32:33], v[158:159], -v[22:23]
	v_add_f64 v[24:25], v[4:5], -v[6:7]
	v_add_f64 v[32:33], v[0:1], -v[2:3]
	;; [unrolled: 1-line block ×3, first 2 shown]
	v_add_f64 v[28:29], v[14:15], v[12:13]
	v_add_f64 v[8:9], v[8:9], v[10:11]
	v_add_f64 v[30:31], v[18:19], v[16:17]
	v_fma_f64 v[20:21], v[52:53], v[166:167], -v[20:21]
	v_add_f64 v[42:43], v[0:1], v[2:3]
	v_add_f64 v[4:5], v[6:7], v[4:5]
	v_add_f64 v[10:11], v[32:33], -v[24:25]
	v_add_f64 v[34:35], v[24:25], -v[26:27]
	v_add_f64 v[40:41], v[24:25], v[26:27]
	v_add_f64 v[16:17], v[18:19], -v[16:17]
	v_add_f64 v[36:37], v[30:31], v[28:29]
	v_add_f64 v[38:39], v[20:21], v[22:23]
	v_add_f64 v[20:21], v[22:23], -v[20:21]
	v_add_f64 v[12:13], v[14:15], -v[12:13]
	;; [unrolled: 1-line block ×3, first 2 shown]
	v_mul_f64 v[24:25], v[34:35], s[22:23]
	v_add_f64 v[34:35], v[40:41], v[32:33]
	v_add_f64 v[0:1], v[38:39], v[36:37]
	v_add_f64 v[18:19], v[28:29], -v[38:39]
	v_add_f64 v[36:37], v[8:9], v[42:43]
	v_add_f64 v[22:23], v[38:39], -v[30:31]
	v_fma_f64 v[6:7], v[10:11], s[30:31], v[24:25]
	v_add_f64 v[14:15], v[20:21], -v[16:17]
	v_add_f64 v[32:33], v[12:13], -v[20:21]
	v_add_f64 v[20:21], v[20:21], v[16:17]
	v_add_f64 v[2:3], v[162:163], v[0:1]
	v_mul_f64 v[18:19], v[18:19], s[18:19]
	v_add_f64 v[36:37], v[4:5], v[36:37]
	v_mul_f64 v[44:45], v[22:23], s[10:11]
	v_fma_f64 v[38:39], v[34:35], s[24:25], v[6:7]
	v_add_f64 v[6:7], v[42:43], -v[4:5]
	v_add_f64 v[4:5], v[4:5], -v[8:9]
	v_mul_f64 v[46:47], v[26:27], s[8:9]
	v_fma_f64 v[40:41], v[0:1], s[28:29], v[2:3]
	v_fma_f64 v[22:23], v[22:23], s[10:11], v[18:19]
	v_add_f64 v[28:29], v[30:31], -v[28:29]
	v_add_f64 v[16:17], v[16:17], -v[12:13]
	v_add_f64 v[0:1], v[160:161], v[36:37]
	v_mul_f64 v[6:7], v[6:7], s[18:19]
	v_mul_f64 v[14:15], v[14:15], s[22:23]
	v_add_f64 v[12:13], v[20:21], v[12:13]
	v_fma_f64 v[10:11], v[10:11], s[26:27], -v[46:47]
	v_add_f64 v[20:21], v[22:23], v[40:41]
	v_fma_f64 v[18:19], v[28:29], s[20:21], -v[18:19]
	v_add_f64 v[8:9], v[8:9], -v[42:43]
	v_mul_f64 v[22:23], v[16:17], s[8:9]
	v_fma_f64 v[30:31], v[4:5], s[10:11], v[6:7]
	v_mul_f64 v[4:5], v[4:5], s[10:11]
	v_fma_f64 v[36:37], v[36:37], s[28:29], v[0:1]
	v_fma_f64 v[48:49], v[32:33], s[30:31], v[14:15]
	v_fma_f64 v[28:29], v[28:29], s[16:17], -v[44:45]
	v_fma_f64 v[24:25], v[26:27], s[8:9], -v[24:25]
	v_fma_f64 v[26:27], v[34:35], s[24:25], v[10:11]
	v_add_f64 v[44:45], v[18:19], v[40:41]
	v_fma_f64 v[10:11], v[8:9], s[20:21], -v[6:7]
	v_fma_f64 v[18:19], v[32:33], s[26:27], -v[22:23]
	v_fma_f64 v[8:9], v[8:9], s[16:17], -v[4:5]
	v_fma_f64 v[14:15], v[16:17], s[8:9], -v[14:15]
	v_fma_f64 v[42:43], v[12:13], s[24:25], v[48:49]
	v_add_f64 v[16:17], v[28:29], v[40:41]
	v_fma_f64 v[22:23], v[34:35], s[24:25], v[24:25]
	v_add_f64 v[6:7], v[38:39], v[20:21]
	v_add_f64 v[28:29], v[10:11], v[36:37]
	v_fma_f64 v[32:33], v[12:13], s[24:25], v[18:19]
	v_add_f64 v[8:9], v[8:9], v[36:37]
	v_fma_f64 v[12:13], v[12:13], s[24:25], v[14:15]
	v_add_f64 v[10:11], v[26:27], v[44:45]
	v_add_f64 v[30:31], v[30:31], v[36:37]
	v_add_f64 v[14:15], v[16:17], -v[22:23]
	v_add_f64 v[18:19], v[22:23], v[16:17]
	v_add_f64 v[22:23], v[44:45], -v[26:27]
	v_add_f64 v[26:27], v[20:21], -v[38:39]
	v_add_f64 v[20:21], v[32:33], v[28:29]
	v_add_f64 v[16:17], v[8:9], -v[12:13]
	v_add_f64 v[12:13], v[12:13], v[8:9]
	v_add_f64 v[8:9], v[28:29], -v[32:33]
	buffer_load_dword v28, off, s[64:67], 0 offset:108 ; 4-byte Folded Reload
	buffer_load_dword v29, off, s[64:67], 0 offset:116 ; 4-byte Folded Reload
	v_add_f64 v[24:25], v[42:43], v[30:31]
	v_add_f64 v[4:5], v[30:31], -v[42:43]
	s_waitcnt vmcnt(1)
	v_mul_u32_u24_e32 v28, 0x77, v28
	s_waitcnt vmcnt(0)
	v_add_lshl_u32 v28, v28, v29, 4
	ds_write_b128 v28, v[0:3]
	ds_write_b128 v28, v[24:27] offset:272
	ds_write_b128 v28, v[20:23] offset:544
	;; [unrolled: 1-line block ×6, first 2 shown]
.LBB0_21:
	s_or_b64 exec, exec, s[34:35]
	s_waitcnt lgkmcnt(0)
	s_barrier
	ds_read_b128 v[0:3], v255
	ds_read_b128 v[4:7], v255 offset:1904
	ds_read_b128 v[8:11], v255 offset:3808
	ds_read_b128 v[12:15], v255 offset:5712
	ds_read_b128 v[16:19], v255 offset:7616
	ds_read_b128 v[20:23], v255 offset:9520
	ds_read_b128 v[24:27], v255 offset:11424
	ds_read_b128 v[28:31], v255 offset:13328
	ds_read_b128 v[32:35], v255 offset:15232
	buffer_load_dword v52, off, s[64:67], 0 offset:92 ; 4-byte Folded Reload
	buffer_load_dword v53, off, s[64:67], 0 offset:96 ; 4-byte Folded Reload
	buffer_load_dword v54, off, s[64:67], 0 offset:100 ; 4-byte Folded Reload
	buffer_load_dword v55, off, s[64:67], 0 offset:104 ; 4-byte Folded Reload
	buffer_load_dword v48, off, s[64:67], 0 offset:76 ; 4-byte Folded Reload
	buffer_load_dword v49, off, s[64:67], 0 offset:80 ; 4-byte Folded Reload
	buffer_load_dword v50, off, s[64:67], 0 offset:84 ; 4-byte Folded Reload
	buffer_load_dword v51, off, s[64:67], 0 offset:88 ; 4-byte Folded Reload
	s_waitcnt lgkmcnt(7)
	v_mul_f64 v[38:39], v[80:81], v[4:5]
	s_waitcnt lgkmcnt(6)
	v_mul_f64 v[42:43], v[76:77], v[8:9]
	v_mul_f64 v[36:37], v[80:81], v[6:7]
	;; [unrolled: 1-line block ×3, first 2 shown]
	s_waitcnt lgkmcnt(5)
	v_mul_f64 v[46:47], v[72:73], v[12:13]
	v_mul_f64 v[44:45], v[72:73], v[14:15]
	s_mov_b32 s9, 0x3fe491b7
	s_mov_b32 s8, 0x523c161c
	v_fma_f64 v[6:7], v[78:79], v[6:7], -v[38:39]
	s_waitcnt lgkmcnt(4)
	v_mul_f64 v[38:39], v[68:69], v[16:17]
	v_fma_f64 v[10:11], v[74:75], v[10:11], -v[42:43]
	v_fma_f64 v[4:5], v[78:79], v[4:5], v[36:37]
	v_mul_f64 v[36:37], v[68:69], v[18:19]
	v_fma_f64 v[8:9], v[74:75], v[8:9], v[40:41]
	v_fma_f64 v[14:15], v[70:71], v[14:15], -v[46:47]
	s_waitcnt lgkmcnt(3)
	v_mul_f64 v[46:47], v[88:89], v[20:21]
	v_fma_f64 v[12:13], v[70:71], v[12:13], v[44:45]
	v_fma_f64 v[18:19], v[66:67], v[18:19], -v[38:39]
	v_mul_f64 v[44:45], v[88:89], v[22:23]
	s_mov_b32 s10, 0x8c811c17
	v_fma_f64 v[16:17], v[66:67], v[16:17], v[36:37]
	s_mov_b32 s16, 0xa2cf5039
	s_mov_b32 s11, 0x3fef838b
	v_fma_f64 v[22:23], v[86:87], v[22:23], -v[46:47]
	s_mov_b32 s17, 0x3fe8836f
	s_mov_b32 s2, 0xe8584cab
	v_fma_f64 v[20:21], v[86:87], v[20:21], v[44:45]
	s_mov_b32 s18, 0x7e0b738b
	s_mov_b32 s3, 0x3febb67a
	;; [unrolled: 1-line block ×9, first 2 shown]
	s_waitcnt vmcnt(4) lgkmcnt(0)
	v_mul_f64 v[42:43], v[54:55], v[32:33]
	v_mul_f64 v[40:41], v[54:55], v[34:35]
	s_waitcnt vmcnt(0)
	v_mul_f64 v[38:39], v[50:51], v[28:29]
	v_mul_f64 v[36:37], v[50:51], v[30:31]
	v_fma_f64 v[34:35], v[52:53], v[34:35], -v[42:43]
	v_fma_f64 v[32:33], v[52:53], v[32:33], v[40:41]
	v_mul_f64 v[42:43], v[84:85], v[24:25]
	v_fma_f64 v[30:31], v[48:49], v[30:31], -v[38:39]
	v_mul_f64 v[40:41], v[84:85], v[26:27]
	v_fma_f64 v[28:29], v[48:49], v[28:29], v[36:37]
	v_add_f64 v[52:53], v[18:19], v[22:23]
	v_add_f64 v[38:39], v[6:7], -v[34:35]
	v_add_f64 v[36:37], v[4:5], -v[32:33]
	v_fma_f64 v[26:27], v[82:83], v[26:27], -v[42:43]
	v_add_f64 v[42:43], v[10:11], -v[30:31]
	v_add_f64 v[32:33], v[4:5], v[32:33]
	v_fma_f64 v[24:25], v[82:83], v[24:25], v[40:41]
	v_add_f64 v[40:41], v[8:9], -v[28:29]
	v_add_f64 v[34:35], v[6:7], v[34:35]
	v_mul_f64 v[46:47], v[38:39], s[8:9]
	v_mul_f64 v[44:45], v[36:37], s[8:9]
	v_add_f64 v[50:51], v[14:15], -v[26:27]
	v_add_f64 v[28:29], v[8:9], v[28:29]
	v_fma_f64 v[8:9], v[32:33], s[16:17], v[0:1]
	v_add_f64 v[48:49], v[12:13], -v[24:25]
	v_add_f64 v[10:11], v[10:11], v[30:31]
	v_add_f64 v[24:25], v[12:13], v[24:25]
	v_fma_f64 v[6:7], v[42:43], s[10:11], v[46:47]
	v_fma_f64 v[4:5], v[40:41], s[10:11], v[44:45]
	v_fma_f64 v[12:13], v[34:35], s[16:17], v[2:3]
	v_add_f64 v[30:31], v[16:17], -v[20:21]
	v_add_f64 v[44:45], v[18:19], -v[22:23]
	v_add_f64 v[46:47], v[16:17], v[20:21]
	v_fma_f64 v[8:9], v[28:29], s[18:19], v[8:9]
	s_mov_b32 s9, 0xbfe491b7
	v_fma_f64 v[6:7], v[50:51], s[2:3], v[6:7]
	v_add_f64 v[26:27], v[14:15], v[26:27]
	v_fma_f64 v[12:13], v[10:11], s[18:19], v[12:13]
	v_mul_f64 v[14:15], v[30:31], s[8:9]
	v_mul_f64 v[54:55], v[44:45], s[8:9]
	v_fma_f64 v[56:57], v[46:47], s[16:17], v[0:1]
	v_fma_f64 v[58:59], v[52:53], s[16:17], v[2:3]
	v_fma_f64 v[4:5], v[48:49], s[2:3], v[4:5]
	v_fma_f64 v[60:61], v[44:45], s[20:21], v[6:7]
	v_fma_f64 v[6:7], v[24:25], -0.5, v[8:9]
	v_fma_f64 v[8:9], v[26:27], -0.5, v[12:13]
	v_fma_f64 v[12:13], v[36:37], s[10:11], v[14:15]
	v_fma_f64 v[14:15], v[38:39], s[10:11], v[54:55]
	;; [unrolled: 1-line block ×10, first 2 shown]
	v_fma_f64 v[54:55], v[24:25], -0.5, v[54:55]
	v_fma_f64 v[56:57], v[26:27], -0.5, v[56:57]
	v_add_f64 v[68:69], v[0:1], v[24:25]
	v_add_f64 v[4:5], v[6:7], -v[60:61]
	v_add_f64 v[6:7], v[58:59], v[8:9]
	v_fma_f64 v[62:63], v[40:41], s[20:21], v[12:13]
	v_fma_f64 v[64:65], v[42:43], s[20:21], v[14:15]
	;; [unrolled: 1-line block ×4, first 2 shown]
	v_add_f64 v[54:55], v[30:31], v[36:37]
	v_add_f64 v[56:57], v[44:45], v[38:39]
	v_fma_f64 v[8:9], v[60:61], 2.0, v[4:5]
	v_mul_f64 v[30:31], v[30:31], s[10:11]
	v_mul_f64 v[44:45], v[44:45], s[10:11]
	v_fma_f64 v[60:61], v[28:29], s[16:17], v[0:1]
	v_add_f64 v[28:29], v[28:29], v[32:33]
	v_add_f64 v[10:11], v[10:11], v[34:35]
	v_add_f64 v[54:55], v[54:55], -v[40:41]
	v_add_f64 v[56:57], v[56:57], -v[42:43]
	;; [unrolled: 1-line block ×3, first 2 shown]
	v_fma_f64 v[30:31], v[40:41], s[8:9], -v[30:31]
	v_fma_f64 v[40:41], v[42:43], s[8:9], -v[44:45]
	v_fma_f64 v[42:43], v[46:47], s[18:19], v[60:61]
	v_fma_f64 v[44:45], v[52:53], s[18:19], v[66:67]
	v_add_f64 v[66:67], v[24:25], v[28:29]
	v_add_f64 v[70:71], v[26:27], v[10:11]
	;; [unrolled: 1-line block ×4, first 2 shown]
	v_fma_f64 v[30:31], v[48:49], s[2:3], v[30:31]
	v_fma_f64 v[40:41], v[50:51], s[2:3], v[40:41]
	v_fma_f64 v[24:25], v[24:25], -0.5, v[42:43]
	v_fma_f64 v[26:27], v[26:27], -0.5, v[44:45]
	v_add_f64 v[10:11], v[52:53], v[10:11]
	v_add_f64 v[16:17], v[16:17], v[66:67]
	;; [unrolled: 1-line block ×3, first 2 shown]
	v_fma_f64 v[28:29], v[28:29], -0.5, v[68:69]
	v_fma_f64 v[30:31], v[36:37], s[20:21], v[30:31]
	v_fma_f64 v[36:37], v[38:39], s[20:21], v[40:41]
	v_fma_f64 v[24:25], v[32:33], s[24:25], v[24:25]
	v_fma_f64 v[26:27], v[34:35], s[24:25], v[26:27]
	v_fma_f64 v[10:11], v[10:11], -0.5, v[60:61]
	v_add_f64 v[32:33], v[20:21], v[16:17]
	v_add_f64 v[34:35], v[22:23], v[18:19]
	v_mul_f64 v[38:39], v[54:55], s[2:3]
	v_mul_f64 v[40:41], v[56:57], s[2:3]
	v_fma_f64 v[16:17], v[56:57], s[22:23], v[28:29]
	v_add_f64 v[20:21], v[24:25], -v[36:37]
	v_add_f64 v[22:23], v[30:31], v[26:27]
	v_fma_f64 v[18:19], v[54:55], s[2:3], v[10:11]
	v_add_f64 v[14:15], v[62:63], v[14:15]
	v_add_f64 v[0:1], v[0:1], v[32:33]
	;; [unrolled: 1-line block ×3, first 2 shown]
	v_fma_f64 v[24:25], v[64:65], 2.0, v[12:13]
	v_fma_f64 v[28:29], v[40:41], 2.0, v[16:17]
	;; [unrolled: 1-line block ×3, first 2 shown]
	v_fma_f64 v[34:35], v[30:31], -2.0, v[22:23]
	v_fma_f64 v[30:31], v[38:39], -2.0, v[18:19]
	;; [unrolled: 1-line block ×4, first 2 shown]
	ds_write_b128 v255, v[0:3]
	ds_write_b128 v255, v[4:7] offset:1904
	ds_write_b128 v255, v[12:15] offset:3808
	;; [unrolled: 1-line block ×8, first 2 shown]
	s_waitcnt lgkmcnt(0)
	s_barrier
	s_and_b64 exec, exec, s[0:1]
	s_cbranch_execz .LBB0_23
; %bb.22:
	global_load_dwordx4 v[0:3], v255, s[12:13]
	buffer_load_dword v22, off, s[64:67], 0 ; 4-byte Folded Reload
	buffer_load_dword v23, off, s[64:67], 0 offset:4 ; 4-byte Folded Reload
	ds_read_b128 v[4:7], v255
	v_mad_u64_u32 v[14:15], s[0:1], s4, v194, 0
	ds_read_b128 v[8:11], v255 offset:1008
	ds_read_b128 v[16:19], v255 offset:16128
	s_mul_i32 s3, s5, 0x3f0
	s_mul_i32 s2, s4, 0x3f0
	s_waitcnt vmcnt(2) lgkmcnt(2)
	v_mul_f64 v[20:21], v[6:7], v[2:3]
	v_mul_f64 v[2:3], v[4:5], v[2:3]
	s_waitcnt vmcnt(1)
	v_mad_u64_u32 v[12:13], s[0:1], s6, v22, 0
	s_waitcnt vmcnt(0)
	v_mad_u64_u32 v[22:23], s[0:1], s7, v22, v[13:14]
	v_fma_f64 v[4:5], v[4:5], v[0:1], v[20:21]
	v_fma_f64 v[2:3], v[0:1], v[6:7], -v[2:3]
	s_waitcnt lgkmcnt(0)
	v_mad_u64_u32 v[23:24], s[0:1], s5, v194, v[15:16]
	s_mov_b32 s0, 0x1e98801f
	s_mov_b32 s1, 0x3f4e9880
	v_mov_b32_e32 v13, v22
	v_lshlrev_b64 v[6:7], 4, v[12:13]
	v_mul_f64 v[0:1], v[4:5], s[0:1]
	v_mul_f64 v[2:3], v[2:3], s[0:1]
	v_mov_b32_e32 v15, v23
	v_mov_b32_e32 v20, s15
	v_lshlrev_b64 v[12:13], 4, v[14:15]
	v_add_co_u32_e32 v4, vcc, s14, v6
	v_addc_co_u32_e32 v5, vcc, v20, v7, vcc
	v_add_co_u32_e32 v4, vcc, v4, v12
	v_addc_co_u32_e32 v5, vcc, v5, v13, vcc
	global_store_dwordx4 v[4:5], v[0:3], off
	global_load_dwordx4 v[0:3], v255, s[12:13] offset:1008
	s_mul_hi_u32 s5, s4, 0x3f0
	s_add_i32 s3, s5, s3
	v_add_co_u32_e32 v12, vcc, s2, v4
	v_mov_b32_e32 v20, s13
	s_movk_i32 s4, 0x1000
	s_waitcnt vmcnt(0)
	v_mul_f64 v[6:7], v[10:11], v[2:3]
	v_mul_f64 v[2:3], v[8:9], v[2:3]
	v_fma_f64 v[6:7], v[8:9], v[0:1], v[6:7]
	v_fma_f64 v[2:3], v[0:1], v[10:11], -v[2:3]
	v_mul_f64 v[0:1], v[6:7], s[0:1]
	v_mul_f64 v[2:3], v[2:3], s[0:1]
	v_mov_b32_e32 v6, s3
	v_addc_co_u32_e32 v13, vcc, v5, v6, vcc
	global_store_dwordx4 v[12:13], v[0:3], off
	global_load_dwordx4 v[0:3], v255, s[12:13] offset:2016
	ds_read_b128 v[4:7], v255 offset:2016
	ds_read_b128 v[8:11], v255 offset:3024
	s_waitcnt vmcnt(0) lgkmcnt(1)
	v_mul_f64 v[14:15], v[6:7], v[2:3]
	v_mul_f64 v[2:3], v[4:5], v[2:3]
	v_fma_f64 v[4:5], v[4:5], v[0:1], v[14:15]
	v_fma_f64 v[2:3], v[0:1], v[6:7], -v[2:3]
	v_mul_f64 v[0:1], v[4:5], s[0:1]
	v_mul_f64 v[2:3], v[2:3], s[0:1]
	v_mov_b32_e32 v5, s3
	v_add_co_u32_e32 v4, vcc, s2, v12
	v_addc_co_u32_e32 v5, vcc, v13, v5, vcc
	v_add_co_u32_e32 v12, vcc, s2, v4
	global_store_dwordx4 v[4:5], v[0:3], off
	global_load_dwordx4 v[0:3], v255, s[12:13] offset:3024
	s_waitcnt vmcnt(0) lgkmcnt(0)
	v_mul_f64 v[6:7], v[10:11], v[2:3]
	v_mul_f64 v[2:3], v[8:9], v[2:3]
	v_fma_f64 v[6:7], v[8:9], v[0:1], v[6:7]
	v_fma_f64 v[2:3], v[0:1], v[10:11], -v[2:3]
	v_mul_f64 v[0:1], v[6:7], s[0:1]
	v_mul_f64 v[2:3], v[2:3], s[0:1]
	v_mov_b32_e32 v6, s3
	v_addc_co_u32_e32 v13, vcc, v5, v6, vcc
	v_add_co_u32_e32 v22, vcc, s12, v255
	v_addc_co_u32_e32 v23, vcc, 0, v20, vcc
	global_store_dwordx4 v[12:13], v[0:3], off
	global_load_dwordx4 v[0:3], v255, s[12:13] offset:4032
	ds_read_b128 v[4:7], v255 offset:4032
	ds_read_b128 v[8:11], v255 offset:5040
	s_waitcnt vmcnt(0) lgkmcnt(1)
	v_mul_f64 v[14:15], v[6:7], v[2:3]
	v_mul_f64 v[2:3], v[4:5], v[2:3]
	v_fma_f64 v[4:5], v[4:5], v[0:1], v[14:15]
	v_fma_f64 v[2:3], v[0:1], v[6:7], -v[2:3]
	v_add_co_u32_e32 v14, vcc, s4, v22
	v_addc_co_u32_e32 v15, vcc, 0, v23, vcc
	v_mov_b32_e32 v6, s3
	s_movk_i32 s4, 0x2000
	v_mul_f64 v[0:1], v[4:5], s[0:1]
	v_mul_f64 v[2:3], v[2:3], s[0:1]
	v_add_co_u32_e32 v4, vcc, s2, v12
	v_addc_co_u32_e32 v5, vcc, v13, v6, vcc
	v_add_co_u32_e32 v12, vcc, s2, v4
	global_store_dwordx4 v[4:5], v[0:3], off
	global_load_dwordx4 v[0:3], v[14:15], off offset:944
	s_waitcnt vmcnt(0) lgkmcnt(0)
	v_mul_f64 v[6:7], v[10:11], v[2:3]
	v_mul_f64 v[2:3], v[8:9], v[2:3]
	v_fma_f64 v[6:7], v[8:9], v[0:1], v[6:7]
	v_fma_f64 v[2:3], v[0:1], v[10:11], -v[2:3]
	v_mul_f64 v[0:1], v[6:7], s[0:1]
	v_mul_f64 v[2:3], v[2:3], s[0:1]
	v_mov_b32_e32 v6, s3
	v_addc_co_u32_e32 v13, vcc, v5, v6, vcc
	global_store_dwordx4 v[12:13], v[0:3], off
	global_load_dwordx4 v[0:3], v[14:15], off offset:1952
	ds_read_b128 v[4:7], v255 offset:6048
	ds_read_b128 v[8:11], v255 offset:7056
	s_waitcnt vmcnt(0) lgkmcnt(1)
	v_mul_f64 v[20:21], v[6:7], v[2:3]
	v_mul_f64 v[2:3], v[4:5], v[2:3]
	v_fma_f64 v[4:5], v[4:5], v[0:1], v[20:21]
	v_fma_f64 v[2:3], v[0:1], v[6:7], -v[2:3]
	v_mul_f64 v[0:1], v[4:5], s[0:1]
	v_mul_f64 v[2:3], v[2:3], s[0:1]
	v_mov_b32_e32 v5, s3
	v_add_co_u32_e32 v4, vcc, s2, v12
	v_addc_co_u32_e32 v5, vcc, v13, v5, vcc
	v_add_co_u32_e32 v12, vcc, s2, v4
	global_store_dwordx4 v[4:5], v[0:3], off
	global_load_dwordx4 v[0:3], v[14:15], off offset:2960
	s_waitcnt vmcnt(0) lgkmcnt(0)
	v_mul_f64 v[6:7], v[10:11], v[2:3]
	v_mul_f64 v[2:3], v[8:9], v[2:3]
	v_fma_f64 v[6:7], v[8:9], v[0:1], v[6:7]
	v_fma_f64 v[2:3], v[0:1], v[10:11], -v[2:3]
	v_mul_f64 v[0:1], v[6:7], s[0:1]
	v_mul_f64 v[2:3], v[2:3], s[0:1]
	v_mov_b32_e32 v6, s3
	v_addc_co_u32_e32 v13, vcc, v5, v6, vcc
	global_store_dwordx4 v[12:13], v[0:3], off
	global_load_dwordx4 v[0:3], v[14:15], off offset:3968
	ds_read_b128 v[4:7], v255 offset:8064
	ds_read_b128 v[8:11], v255 offset:9072
	s_waitcnt vmcnt(0) lgkmcnt(1)
	v_mul_f64 v[14:15], v[6:7], v[2:3]
	v_mul_f64 v[2:3], v[4:5], v[2:3]
	v_fma_f64 v[4:5], v[4:5], v[0:1], v[14:15]
	v_fma_f64 v[2:3], v[0:1], v[6:7], -v[2:3]
	v_add_co_u32_e32 v14, vcc, s4, v22
	v_addc_co_u32_e32 v15, vcc, 0, v23, vcc
	v_mov_b32_e32 v6, s3
	s_movk_i32 s4, 0x3000
	v_mul_f64 v[0:1], v[4:5], s[0:1]
	v_mul_f64 v[2:3], v[2:3], s[0:1]
	v_add_co_u32_e32 v4, vcc, s2, v12
	v_addc_co_u32_e32 v5, vcc, v13, v6, vcc
	v_add_co_u32_e32 v12, vcc, s2, v4
	global_store_dwordx4 v[4:5], v[0:3], off
	global_load_dwordx4 v[0:3], v[14:15], off offset:880
	s_waitcnt vmcnt(0) lgkmcnt(0)
	v_mul_f64 v[6:7], v[10:11], v[2:3]
	v_mul_f64 v[2:3], v[8:9], v[2:3]
	v_fma_f64 v[6:7], v[8:9], v[0:1], v[6:7]
	v_fma_f64 v[2:3], v[0:1], v[10:11], -v[2:3]
	v_mul_f64 v[0:1], v[6:7], s[0:1]
	v_mul_f64 v[2:3], v[2:3], s[0:1]
	v_mov_b32_e32 v6, s3
	v_addc_co_u32_e32 v13, vcc, v5, v6, vcc
	global_store_dwordx4 v[12:13], v[0:3], off
	global_load_dwordx4 v[0:3], v[14:15], off offset:1888
	ds_read_b128 v[4:7], v255 offset:10080
	ds_read_b128 v[8:11], v255 offset:11088
	s_waitcnt vmcnt(0) lgkmcnt(1)
	v_mul_f64 v[20:21], v[6:7], v[2:3]
	v_mul_f64 v[2:3], v[4:5], v[2:3]
	v_fma_f64 v[4:5], v[4:5], v[0:1], v[20:21]
	v_fma_f64 v[2:3], v[0:1], v[6:7], -v[2:3]
	v_mul_f64 v[0:1], v[4:5], s[0:1]
	v_mul_f64 v[2:3], v[2:3], s[0:1]
	v_mov_b32_e32 v5, s3
	v_add_co_u32_e32 v4, vcc, s2, v12
	v_addc_co_u32_e32 v5, vcc, v13, v5, vcc
	v_add_co_u32_e32 v12, vcc, s2, v4
	global_store_dwordx4 v[4:5], v[0:3], off
	global_load_dwordx4 v[0:3], v[14:15], off offset:2896
	s_waitcnt vmcnt(0) lgkmcnt(0)
	v_mul_f64 v[6:7], v[10:11], v[2:3]
	v_mul_f64 v[2:3], v[8:9], v[2:3]
	v_fma_f64 v[6:7], v[8:9], v[0:1], v[6:7]
	v_fma_f64 v[2:3], v[0:1], v[10:11], -v[2:3]
	v_mul_f64 v[0:1], v[6:7], s[0:1]
	v_mul_f64 v[2:3], v[2:3], s[0:1]
	v_mov_b32_e32 v6, s3
	v_addc_co_u32_e32 v13, vcc, v5, v6, vcc
	global_store_dwordx4 v[12:13], v[0:3], off
	global_load_dwordx4 v[0:3], v[14:15], off offset:3904
	ds_read_b128 v[4:7], v255 offset:12096
	ds_read_b128 v[8:11], v255 offset:13104
	s_waitcnt vmcnt(0) lgkmcnt(1)
	v_mul_f64 v[14:15], v[6:7], v[2:3]
	v_mul_f64 v[2:3], v[4:5], v[2:3]
	v_fma_f64 v[4:5], v[4:5], v[0:1], v[14:15]
	v_fma_f64 v[2:3], v[0:1], v[6:7], -v[2:3]
	v_add_co_u32_e32 v14, vcc, s4, v22
	v_addc_co_u32_e32 v15, vcc, 0, v23, vcc
	v_mov_b32_e32 v6, s3
	v_mul_f64 v[0:1], v[4:5], s[0:1]
	v_mul_f64 v[2:3], v[2:3], s[0:1]
	v_add_co_u32_e32 v4, vcc, s2, v12
	v_addc_co_u32_e32 v5, vcc, v13, v6, vcc
	v_add_co_u32_e32 v12, vcc, s2, v4
	global_store_dwordx4 v[4:5], v[0:3], off
	global_load_dwordx4 v[0:3], v[14:15], off offset:816
	s_waitcnt vmcnt(0) lgkmcnt(0)
	v_mul_f64 v[6:7], v[10:11], v[2:3]
	v_mul_f64 v[2:3], v[8:9], v[2:3]
	v_fma_f64 v[6:7], v[8:9], v[0:1], v[6:7]
	v_fma_f64 v[2:3], v[0:1], v[10:11], -v[2:3]
	v_mul_f64 v[0:1], v[6:7], s[0:1]
	v_mul_f64 v[2:3], v[2:3], s[0:1]
	v_mov_b32_e32 v6, s3
	v_addc_co_u32_e32 v13, vcc, v5, v6, vcc
	global_store_dwordx4 v[12:13], v[0:3], off
	global_load_dwordx4 v[0:3], v[14:15], off offset:1824
	ds_read_b128 v[4:7], v255 offset:14112
	ds_read_b128 v[8:11], v255 offset:15120
	s_waitcnt vmcnt(0) lgkmcnt(1)
	v_mul_f64 v[20:21], v[6:7], v[2:3]
	v_mul_f64 v[2:3], v[4:5], v[2:3]
	v_fma_f64 v[4:5], v[4:5], v[0:1], v[20:21]
	v_fma_f64 v[2:3], v[0:1], v[6:7], -v[2:3]
	v_mul_f64 v[0:1], v[4:5], s[0:1]
	v_mul_f64 v[2:3], v[2:3], s[0:1]
	v_mov_b32_e32 v5, s3
	v_add_co_u32_e32 v4, vcc, s2, v12
	v_addc_co_u32_e32 v5, vcc, v13, v5, vcc
	global_store_dwordx4 v[4:5], v[0:3], off
	global_load_dwordx4 v[0:3], v[14:15], off offset:2832
	v_add_co_u32_e32 v4, vcc, s2, v4
	s_waitcnt vmcnt(0) lgkmcnt(0)
	v_mul_f64 v[6:7], v[10:11], v[2:3]
	v_mul_f64 v[2:3], v[8:9], v[2:3]
	v_fma_f64 v[6:7], v[8:9], v[0:1], v[6:7]
	v_fma_f64 v[2:3], v[0:1], v[10:11], -v[2:3]
	v_mul_f64 v[0:1], v[6:7], s[0:1]
	v_mul_f64 v[2:3], v[2:3], s[0:1]
	v_mov_b32_e32 v6, s3
	v_addc_co_u32_e32 v5, vcc, v5, v6, vcc
	global_store_dwordx4 v[4:5], v[0:3], off
	global_load_dwordx4 v[0:3], v[14:15], off offset:3840
	v_add_co_u32_e32 v4, vcc, s2, v4
	s_waitcnt vmcnt(0)
	v_mul_f64 v[6:7], v[18:19], v[2:3]
	v_mul_f64 v[2:3], v[16:17], v[2:3]
	v_fma_f64 v[6:7], v[16:17], v[0:1], v[6:7]
	v_fma_f64 v[2:3], v[0:1], v[18:19], -v[2:3]
	v_mul_f64 v[0:1], v[6:7], s[0:1]
	v_mul_f64 v[2:3], v[2:3], s[0:1]
	v_mov_b32_e32 v6, s3
	v_addc_co_u32_e32 v5, vcc, v5, v6, vcc
	global_store_dwordx4 v[4:5], v[0:3], off
.LBB0_23:
	s_endpgm
	.section	.rodata,"a",@progbits
	.p2align	6, 0x0
	.amdhsa_kernel bluestein_single_fwd_len1071_dim1_dp_op_CI_CI
		.amdhsa_group_segment_fixed_size 17136
		.amdhsa_private_segment_fixed_size 508
		.amdhsa_kernarg_size 104
		.amdhsa_user_sgpr_count 6
		.amdhsa_user_sgpr_private_segment_buffer 1
		.amdhsa_user_sgpr_dispatch_ptr 0
		.amdhsa_user_sgpr_queue_ptr 0
		.amdhsa_user_sgpr_kernarg_segment_ptr 1
		.amdhsa_user_sgpr_dispatch_id 0
		.amdhsa_user_sgpr_flat_scratch_init 0
		.amdhsa_user_sgpr_private_segment_size 0
		.amdhsa_uses_dynamic_stack 0
		.amdhsa_system_sgpr_private_segment_wavefront_offset 1
		.amdhsa_system_sgpr_workgroup_id_x 1
		.amdhsa_system_sgpr_workgroup_id_y 0
		.amdhsa_system_sgpr_workgroup_id_z 0
		.amdhsa_system_sgpr_workgroup_info 0
		.amdhsa_system_vgpr_workitem_id 0
		.amdhsa_next_free_vgpr 256
		.amdhsa_next_free_sgpr 68
		.amdhsa_reserve_vcc 1
		.amdhsa_reserve_flat_scratch 0
		.amdhsa_float_round_mode_32 0
		.amdhsa_float_round_mode_16_64 0
		.amdhsa_float_denorm_mode_32 3
		.amdhsa_float_denorm_mode_16_64 3
		.amdhsa_dx10_clamp 1
		.amdhsa_ieee_mode 1
		.amdhsa_fp16_overflow 0
		.amdhsa_exception_fp_ieee_invalid_op 0
		.amdhsa_exception_fp_denorm_src 0
		.amdhsa_exception_fp_ieee_div_zero 0
		.amdhsa_exception_fp_ieee_overflow 0
		.amdhsa_exception_fp_ieee_underflow 0
		.amdhsa_exception_fp_ieee_inexact 0
		.amdhsa_exception_int_div_zero 0
	.end_amdhsa_kernel
	.text
.Lfunc_end0:
	.size	bluestein_single_fwd_len1071_dim1_dp_op_CI_CI, .Lfunc_end0-bluestein_single_fwd_len1071_dim1_dp_op_CI_CI
                                        ; -- End function
	.section	.AMDGPU.csdata,"",@progbits
; Kernel info:
; codeLenInByte = 30032
; NumSgprs: 72
; NumVgprs: 256
; ScratchSize: 508
; MemoryBound: 0
; FloatMode: 240
; IeeeMode: 1
; LDSByteSize: 17136 bytes/workgroup (compile time only)
; SGPRBlocks: 8
; VGPRBlocks: 63
; NumSGPRsForWavesPerEU: 72
; NumVGPRsForWavesPerEU: 256
; Occupancy: 1
; WaveLimiterHint : 1
; COMPUTE_PGM_RSRC2:SCRATCH_EN: 1
; COMPUTE_PGM_RSRC2:USER_SGPR: 6
; COMPUTE_PGM_RSRC2:TRAP_HANDLER: 0
; COMPUTE_PGM_RSRC2:TGID_X_EN: 1
; COMPUTE_PGM_RSRC2:TGID_Y_EN: 0
; COMPUTE_PGM_RSRC2:TGID_Z_EN: 0
; COMPUTE_PGM_RSRC2:TIDIG_COMP_CNT: 0
	.type	__hip_cuid_dc28477997a5e08d,@object ; @__hip_cuid_dc28477997a5e08d
	.section	.bss,"aw",@nobits
	.globl	__hip_cuid_dc28477997a5e08d
__hip_cuid_dc28477997a5e08d:
	.byte	0                               ; 0x0
	.size	__hip_cuid_dc28477997a5e08d, 1

	.ident	"AMD clang version 19.0.0git (https://github.com/RadeonOpenCompute/llvm-project roc-6.4.0 25133 c7fe45cf4b819c5991fe208aaa96edf142730f1d)"
	.section	".note.GNU-stack","",@progbits
	.addrsig
	.addrsig_sym __hip_cuid_dc28477997a5e08d
	.amdgpu_metadata
---
amdhsa.kernels:
  - .args:
      - .actual_access:  read_only
        .address_space:  global
        .offset:         0
        .size:           8
        .value_kind:     global_buffer
      - .actual_access:  read_only
        .address_space:  global
        .offset:         8
        .size:           8
        .value_kind:     global_buffer
      - .actual_access:  read_only
        .address_space:  global
        .offset:         16
        .size:           8
        .value_kind:     global_buffer
      - .actual_access:  read_only
        .address_space:  global
        .offset:         24
        .size:           8
        .value_kind:     global_buffer
      - .actual_access:  read_only
        .address_space:  global
        .offset:         32
        .size:           8
        .value_kind:     global_buffer
      - .offset:         40
        .size:           8
        .value_kind:     by_value
      - .address_space:  global
        .offset:         48
        .size:           8
        .value_kind:     global_buffer
      - .address_space:  global
        .offset:         56
        .size:           8
        .value_kind:     global_buffer
      - .address_space:  global
        .offset:         64
        .size:           8
        .value_kind:     global_buffer
      - .address_space:  global
        .offset:         72
        .size:           8
        .value_kind:     global_buffer
      - .offset:         80
        .size:           4
        .value_kind:     by_value
      - .address_space:  global
        .offset:         88
        .size:           8
        .value_kind:     global_buffer
      - .address_space:  global
        .offset:         96
        .size:           8
        .value_kind:     global_buffer
    .group_segment_fixed_size: 17136
    .kernarg_segment_align: 8
    .kernarg_segment_size: 104
    .language:       OpenCL C
    .language_version:
      - 2
      - 0
    .max_flat_workgroup_size: 119
    .name:           bluestein_single_fwd_len1071_dim1_dp_op_CI_CI
    .private_segment_fixed_size: 508
    .sgpr_count:     72
    .sgpr_spill_count: 0
    .symbol:         bluestein_single_fwd_len1071_dim1_dp_op_CI_CI.kd
    .uniform_work_group_size: 1
    .uses_dynamic_stack: false
    .vgpr_count:     256
    .vgpr_spill_count: 220
    .wavefront_size: 64
amdhsa.target:   amdgcn-amd-amdhsa--gfx906
amdhsa.version:
  - 1
  - 2
...

	.end_amdgpu_metadata
